;; amdgpu-corpus repo=ROCm/rocFFT kind=compiled arch=gfx906 opt=O3
	.text
	.amdgcn_target "amdgcn-amd-amdhsa--gfx906"
	.amdhsa_code_object_version 6
	.protected	bluestein_single_fwd_len612_dim1_dp_op_CI_CI ; -- Begin function bluestein_single_fwd_len612_dim1_dp_op_CI_CI
	.globl	bluestein_single_fwd_len612_dim1_dp_op_CI_CI
	.p2align	8
	.type	bluestein_single_fwd_len612_dim1_dp_op_CI_CI,@function
bluestein_single_fwd_len612_dim1_dp_op_CI_CI: ; @bluestein_single_fwd_len612_dim1_dp_op_CI_CI
; %bb.0:
	s_mov_b64 s[62:63], s[2:3]
	s_mov_b64 s[60:61], s[0:1]
	s_load_dwordx4 s[0:3], s[4:5], 0x28
	v_mul_u32_u24_e32 v1, 0x506, v0
	v_add_u32_sdwa v217, s6, v1 dst_sel:DWORD dst_unused:UNUSED_PAD src0_sel:DWORD src1_sel:WORD_1
	v_mov_b32_e32 v218, 0
	s_add_u32 s60, s60, s7
	s_waitcnt lgkmcnt(0)
	v_cmp_gt_u64_e32 vcc, s[0:1], v[217:218]
	s_addc_u32 s61, s61, 0
	s_and_saveexec_b64 s[0:1], vcc
	s_cbranch_execz .LBB0_15
; %bb.1:
	s_load_dwordx2 s[12:13], s[4:5], 0x0
	s_load_dwordx2 s[14:15], s[4:5], 0x38
	v_mov_b32_e32 v2, 51
	v_mul_lo_u16_sdwa v1, v1, v2 dst_sel:DWORD dst_unused:UNUSED_PAD src0_sel:WORD_1 src1_sel:DWORD
	v_sub_u16_e32 v255, v0, v1
	v_cmp_gt_u16_e32 vcc, 36, v255
	v_lshlrev_b32_e32 v180, 4, v255
	s_and_saveexec_b64 s[6:7], vcc
	s_cbranch_execz .LBB0_3
; %bb.2:
	s_load_dwordx2 s[0:1], s[4:5], 0x18
	s_waitcnt lgkmcnt(0)
	v_mov_b32_e32 v54, s13
	v_or_b32_e32 v131, 0x240, v255
	v_lshlrev_b32_e32 v64, 4, v131
	s_load_dwordx4 s[8:11], s[0:1], 0x0
	s_waitcnt lgkmcnt(0)
	v_mad_u64_u32 v[0:1], s[0:1], s10, v217, 0
	v_mad_u64_u32 v[2:3], s[0:1], s8, v255, 0
	;; [unrolled: 1-line block ×4, first 2 shown]
	v_mov_b32_e32 v1, v4
	v_lshlrev_b64 v[0:1], 4, v[0:1]
	v_mov_b32_e32 v3, v5
	v_mov_b32_e32 v6, s3
	v_lshlrev_b64 v[2:3], 4, v[2:3]
	v_add_co_u32_e64 v24, s[0:1], s2, v0
	v_addc_co_u32_e64 v25, s[0:1], v6, v1, s[0:1]
	v_add_co_u32_e64 v8, s[0:1], v24, v2
	v_addc_co_u32_e64 v9, s[0:1], v25, v3, s[0:1]
	s_mul_i32 s0, s9, 0x240
	s_mul_hi_u32 s3, s8, 0x240
	s_add_i32 s3, s3, s0
	s_mul_i32 s2, s8, 0x240
	v_mov_b32_e32 v0, s3
	v_add_co_u32_e64 v10, s[0:1], s2, v8
	v_addc_co_u32_e64 v11, s[0:1], v9, v0, s[0:1]
	global_load_dwordx4 v[0:3], v[8:9], off
	global_load_dwordx4 v[4:7], v[10:11], off
	v_mov_b32_e32 v8, s3
	v_add_co_u32_e64 v26, s[0:1], s2, v10
	v_addc_co_u32_e64 v27, s[0:1], v11, v8, s[0:1]
	v_mov_b32_e32 v16, s3
	v_add_co_u32_e64 v28, s[0:1], s2, v26
	v_addc_co_u32_e64 v29, s[0:1], v27, v16, s[0:1]
	global_load_dwordx4 v[8:11], v180, s[12:13] offset:576
	global_load_dwordx4 v[12:15], v180, s[12:13] offset:1152
	global_load_dwordx4 v[16:19], v[26:27], off
	global_load_dwordx4 v[20:23], v[28:29], off
	v_mov_b32_e32 v26, s3
	v_add_co_u32_e64 v38, s[0:1], s2, v28
	v_addc_co_u32_e64 v39, s[0:1], v29, v26, s[0:1]
	v_mov_b32_e32 v40, s3
	v_add_co_u32_e64 v62, s[0:1], s2, v38
	v_addc_co_u32_e64 v63, s[0:1], v39, v40, s[0:1]
	v_add_co_u32_e64 v132, s[0:1], s12, v180
	v_addc_co_u32_e64 v133, s[0:1], 0, v54, s[0:1]
	global_load_dwordx4 v[26:29], v[38:39], off
	global_load_dwordx4 v[30:33], v180, s[12:13] offset:1728
	global_load_dwordx4 v[34:37], v180, s[12:13] offset:2304
	v_add_co_u32_e64 v66, s[0:1], s2, v62
	global_load_dwordx4 v[38:41], v[62:63], off
	global_load_dwordx4 v[42:45], v180, s[12:13] offset:2880
	global_load_dwordx4 v[46:49], v180, s[12:13] offset:3456
	;; [unrolled: 1-line block ×3, first 2 shown]
	global_load_dwordx4 v[54:57], v180, s[12:13]
	global_load_dwordx4 v[58:61], v64, s[12:13]
	v_mov_b32_e32 v64, s3
	v_addc_co_u32_e64 v67, s[0:1], v63, v64, s[0:1]
	v_mov_b32_e32 v68, s3
	v_add_co_u32_e64 v70, s[0:1], s2, v66
	v_addc_co_u32_e64 v71, s[0:1], v67, v68, s[0:1]
	v_mov_b32_e32 v72, s3
	v_add_co_u32_e64 v74, s[0:1], s2, v70
	v_addc_co_u32_e64 v75, s[0:1], v71, v72, s[0:1]
	s_movk_i32 s0, 0x1000
	v_add_co_u32_e64 v122, s[0:1], s0, v132
	v_addc_co_u32_e64 v123, s[0:1], 0, v133, s[0:1]
	v_mov_b32_e32 v76, s3
	v_add_co_u32_e64 v86, s[0:1], s2, v74
	v_addc_co_u32_e64 v87, s[0:1], v75, v76, s[0:1]
	v_mov_b32_e32 v88, s3
	;; [unrolled: 3-line block ×3, first 2 shown]
	v_add_co_u32_e64 v102, s[0:1], s2, v90
	v_addc_co_u32_e64 v103, s[0:1], v91, v92, s[0:1]
	global_load_dwordx4 v[62:65], v[66:67], off
	v_mov_b32_e32 v104, s3
	v_add_co_u32_e64 v106, s[0:1], s2, v102
	global_load_dwordx4 v[66:69], v[70:71], off
	v_addc_co_u32_e64 v107, s[0:1], v103, v104, s[0:1]
	global_load_dwordx4 v[70:73], v[74:75], off
	v_mov_b32_e32 v108, s3
	v_add_co_u32_e64 v118, s[0:1], s2, v106
	global_load_dwordx4 v[74:77], v[86:87], off
	global_load_dwordx4 v[78:81], v[122:123], off offset:512
	global_load_dwordx4 v[82:85], v[122:123], off offset:1088
	v_addc_co_u32_e64 v119, s[0:1], v107, v108, s[0:1]
	v_mov_b32_e32 v120, s3
	v_add_co_u32_e64 v126, s[0:1], s2, v118
	v_addc_co_u32_e64 v127, s[0:1], v119, v120, s[0:1]
	v_mad_u64_u32 v[134:135], s[0:1], s8, v131, 0
	global_load_dwordx4 v[86:89], v[90:91], off
	s_nop 0
	global_load_dwordx4 v[90:93], v[102:103], off
	global_load_dwordx4 v[94:97], v[122:123], off offset:1664
	global_load_dwordx4 v[98:101], v[122:123], off offset:2240
	v_mov_b32_e32 v128, s3
	global_load_dwordx4 v[102:105], v[106:107], off
	s_nop 0
	global_load_dwordx4 v[106:109], v[118:119], off
	global_load_dwordx4 v[110:113], v[122:123], off offset:2816
	global_load_dwordx4 v[114:117], v[122:123], off offset:3392
	s_nop 0
	global_load_dwordx4 v[118:121], v[126:127], off
	s_nop 0
	global_load_dwordx4 v[122:125], v[122:123], off offset:3968
	v_add_co_u32_e64 v126, s[0:1], s2, v126
	v_mov_b32_e32 v130, v135
	v_addc_co_u32_e64 v127, s[0:1], v127, v128, s[0:1]
	v_mad_u64_u32 v[135:136], s[0:1], s9, v131, v[130:131]
	s_movk_i32 s2, 0x2000
	v_add_co_u32_e64 v130, s[0:1], s2, v132
	v_lshlrev_b64 v[134:135], 4, v[134:135]
	v_addc_co_u32_e64 v131, s[0:1], 0, v133, s[0:1]
	v_add_co_u32_e64 v24, s[0:1], v24, v134
	global_load_dwordx4 v[126:129], v[126:127], off
	v_addc_co_u32_e64 v25, s[0:1], v25, v135, s[0:1]
	global_load_dwordx4 v[130:133], v[130:131], off offset:448
	s_waitcnt vmcnt(30)
	v_mul_f64 v[138:139], v[6:7], v[10:11]
	global_load_dwordx4 v[134:137], v[24:25], off
	s_waitcnt vmcnt(20)
	v_mul_f64 v[24:25], v[2:3], v[56:57]
	v_mul_f64 v[10:11], v[4:5], v[10:11]
	v_mul_f64 v[140:141], v[18:19], v[14:15]
	v_mul_f64 v[144:145], v[28:29], v[36:37]
	v_mul_f64 v[56:57], v[0:1], v[56:57]
	v_mul_f64 v[14:15], v[16:17], v[14:15]
	v_mul_f64 v[142:143], v[22:23], v[32:33]
	v_mul_f64 v[32:33], v[20:21], v[32:33]
	v_mul_f64 v[36:37], v[26:27], v[36:37]
	v_mul_f64 v[146:147], v[40:41], v[44:45]
	v_mul_f64 v[44:45], v[38:39], v[44:45]
	v_fma_f64 v[0:1], v[0:1], v[54:55], v[24:25]
	v_fma_f64 v[4:5], v[4:5], v[8:9], v[138:139]
	v_fma_f64 v[6:7], v[6:7], v[8:9], -v[10:11]
	v_fma_f64 v[8:9], v[16:17], v[12:13], v[140:141]
	v_fma_f64 v[16:17], v[26:27], v[34:35], v[144:145]
	v_fma_f64 v[2:3], v[2:3], v[54:55], -v[56:57]
	v_fma_f64 v[10:11], v[18:19], v[12:13], -v[14:15]
	v_fma_f64 v[12:13], v[20:21], v[30:31], v[142:143]
	v_fma_f64 v[14:15], v[22:23], v[30:31], -v[32:33]
	v_fma_f64 v[18:19], v[28:29], v[34:35], -v[36:37]
	v_fma_f64 v[20:21], v[38:39], v[42:43], v[146:147]
	v_fma_f64 v[22:23], v[40:41], v[42:43], -v[44:45]
	ds_write_b128 v180, v[0:3]
	s_waitcnt vmcnt(18)
	v_mul_f64 v[24:25], v[64:65], v[48:49]
	v_mul_f64 v[26:27], v[62:63], v[48:49]
	s_waitcnt vmcnt(17)
	v_mul_f64 v[28:29], v[68:69], v[52:53]
	v_mul_f64 v[30:31], v[66:67], v[52:53]
	v_fma_f64 v[24:25], v[62:63], v[46:47], v[24:25]
	v_fma_f64 v[26:27], v[64:65], v[46:47], -v[26:27]
	s_waitcnt vmcnt(14)
	v_mul_f64 v[32:33], v[72:73], v[80:81]
	v_mul_f64 v[34:35], v[70:71], v[80:81]
	v_fma_f64 v[0:1], v[66:67], v[50:51], v[28:29]
	v_fma_f64 v[2:3], v[68:69], v[50:51], -v[30:31]
	v_fma_f64 v[28:29], v[70:71], v[78:79], v[32:33]
	v_fma_f64 v[30:31], v[72:73], v[78:79], -v[34:35]
	ds_write_b128 v180, v[4:7] offset:576
	ds_write_b128 v180, v[8:11] offset:1152
	;; [unrolled: 1-line block ×8, first 2 shown]
	s_waitcnt vmcnt(13)
	v_mul_f64 v[0:1], v[76:77], v[84:85]
	v_mul_f64 v[2:3], v[74:75], v[84:85]
	s_waitcnt vmcnt(10)
	v_mul_f64 v[4:5], v[88:89], v[96:97]
	v_mul_f64 v[6:7], v[86:87], v[96:97]
	;; [unrolled: 3-line block ×6, first 2 shown]
	v_fma_f64 v[0:1], v[74:75], v[82:83], v[0:1]
	v_fma_f64 v[2:3], v[76:77], v[82:83], -v[2:3]
	v_fma_f64 v[4:5], v[86:87], v[94:95], v[4:5]
	v_fma_f64 v[6:7], v[88:89], v[94:95], -v[6:7]
	;; [unrolled: 2-line block ×6, first 2 shown]
	s_waitcnt vmcnt(1)
	v_mul_f64 v[24:25], v[128:129], v[132:133]
	v_mul_f64 v[26:27], v[126:127], v[132:133]
	s_waitcnt vmcnt(0)
	v_mul_f64 v[28:29], v[136:137], v[60:61]
	v_mul_f64 v[30:31], v[134:135], v[60:61]
	v_fma_f64 v[24:25], v[126:127], v[130:131], v[24:25]
	v_fma_f64 v[26:27], v[128:129], v[130:131], -v[26:27]
	v_fma_f64 v[28:29], v[134:135], v[58:59], v[28:29]
	v_fma_f64 v[30:31], v[136:137], v[58:59], -v[30:31]
	ds_write_b128 v180, v[0:3] offset:5184
	ds_write_b128 v180, v[4:7] offset:5760
	;; [unrolled: 1-line block ×8, first 2 shown]
.LBB0_3:
	s_or_b64 exec, exec, s[6:7]
	s_load_dwordx2 s[2:3], s[4:5], 0x20
	s_load_dwordx2 s[0:1], s[4:5], 0x8
	s_waitcnt lgkmcnt(0)
	; wave barrier
	s_waitcnt lgkmcnt(0)
                                        ; implicit-def: $vgpr20_vgpr21
                                        ; implicit-def: $vgpr80_vgpr81
                                        ; implicit-def: $vgpr84_vgpr85
                                        ; implicit-def: $vgpr76_vgpr77
                                        ; implicit-def: $vgpr72_vgpr73
                                        ; implicit-def: $vgpr68_vgpr69
                                        ; implicit-def: $vgpr24_vgpr25
                                        ; implicit-def: $vgpr28_vgpr29
                                        ; implicit-def: $vgpr32_vgpr33
                                        ; implicit-def: $vgpr36_vgpr37
                                        ; implicit-def: $vgpr40_vgpr41
                                        ; implicit-def: $vgpr44_vgpr45
                                        ; implicit-def: $vgpr48_vgpr49
                                        ; implicit-def: $vgpr52_vgpr53
                                        ; implicit-def: $vgpr56_vgpr57
                                        ; implicit-def: $vgpr60_vgpr61
                                        ; implicit-def: $vgpr64_vgpr65
	s_and_saveexec_b64 s[4:5], vcc
	s_cbranch_execz .LBB0_5
; %bb.4:
	ds_read_b128 v[20:23], v180
	ds_read_b128 v[80:83], v180 offset:576
	ds_read_b128 v[84:87], v180 offset:1152
	ds_read_b128 v[76:79], v180 offset:1728
	ds_read_b128 v[72:75], v180 offset:2304
	ds_read_b128 v[68:71], v180 offset:2880
	ds_read_b128 v[24:27], v180 offset:3456
	ds_read_b128 v[28:31], v180 offset:4032
	ds_read_b128 v[32:35], v180 offset:4608
	ds_read_b128 v[36:39], v180 offset:5184
	ds_read_b128 v[40:43], v180 offset:5760
	ds_read_b128 v[44:47], v180 offset:6336
	ds_read_b128 v[48:51], v180 offset:6912
	ds_read_b128 v[52:55], v180 offset:7488
	ds_read_b128 v[56:59], v180 offset:8064
	ds_read_b128 v[60:63], v180 offset:8640
	ds_read_b128 v[64:67], v180 offset:9216
.LBB0_5:
	s_or_b64 exec, exec, s[4:5]
	s_waitcnt lgkmcnt(0)
	v_add_f64 v[136:137], v[82:83], -v[66:67]
	s_mov_b32 s16, 0x5d8e7cdc
	s_mov_b32 s17, 0xbfd71e95
	v_add_f64 v[209:210], v[70:71], -v[50:51]
	v_add_f64 v[213:214], v[68:69], -v[48:49]
	s_mov_b32 s36, 0x923c349f
	s_mov_b32 s37, 0xbfeec746
	v_add_f64 v[130:131], v[80:81], -v[64:65]
	v_mul_f64 v[0:1], v[136:137], s[16:17]
	v_add_f64 v[106:107], v[80:81], v[64:65]
	v_add_f64 v[112:113], v[82:83], v[66:67]
	v_mul_f64 v[8:9], v[209:210], s[36:37]
	v_mul_f64 v[10:11], v[213:214], s[36:37]
	v_add_f64 v[154:155], v[86:87], -v[62:63]
	v_add_f64 v[152:153], v[84:85], -v[60:61]
	v_mul_f64 v[94:95], v[130:131], s[16:17]
	buffer_store_dword v0, off, s[60:63], 0 offset:416 ; 4-byte Folded Spill
	s_nop 0
	buffer_store_dword v1, off, s[60:63], 0 offset:420 ; 4-byte Folded Spill
	buffer_store_dword v8, off, s[60:63], 0 offset:48 ; 4-byte Folded Spill
	s_nop 0
	buffer_store_dword v9, off, s[60:63], 0 offset:52 ; 4-byte Folded Spill
	;; [unrolled: 3-line block ×3, first 2 shown]
	s_mov_b32 s4, 0x370991
	s_mov_b32 s18, 0x2a9d6da3
	;; [unrolled: 1-line block ×4, first 2 shown]
	v_fma_f64 v[2:3], v[112:113], s[4:5], -v[94:95]
	v_add_f64 v[120:121], v[84:85], v[60:61]
	v_add_f64 v[181:182], v[78:79], -v[58:59]
	v_mul_f64 v[96:97], v[154:155], s[18:19]
	v_add_f64 v[128:129], v[86:87], v[62:63]
	v_mul_f64 v[226:227], v[152:153], s[18:19]
	v_add_f64 v[178:179], v[76:77], -v[56:57]
	s_mov_b32 s6, 0x75d4884
	s_mov_b32 s26, 0x7c9e640b
	;; [unrolled: 1-line block ×4, first 2 shown]
	v_add_f64 v[2:3], v[22:23], v[2:3]
	v_fma_f64 v[4:5], v[120:121], s[6:7], v[96:97]
	v_add_f64 v[126:127], v[76:77], v[56:57]
	v_mul_f64 v[98:99], v[181:182], s[26:27]
	v_add_f64 v[183:184], v[74:75], -v[54:55]
	v_fma_f64 v[6:7], v[128:129], s[6:7], -v[226:227]
	v_add_f64 v[140:141], v[78:79], v[58:59]
	v_mul_f64 v[243:244], v[178:179], s[26:27]
	v_add_f64 v[191:192], v[72:73], -v[52:53]
	s_mov_b32 s8, 0x2b2883cd
	s_mov_b32 s34, 0xeb564b22
	;; [unrolled: 1-line block ×4, first 2 shown]
	v_add_f64 v[138:139], v[72:73], v[52:53]
	v_mul_f64 v[237:238], v[183:184], s[34:35]
	v_add_f64 v[2:3], v[6:7], v[2:3]
	v_fma_f64 v[6:7], v[140:141], s[8:9], -v[243:244]
	v_add_f64 v[142:143], v[74:75], v[54:55]
	v_mul_f64 v[245:246], v[191:192], s[34:35]
	s_mov_b32 s10, 0x3259b75e
	s_mov_b32 s11, 0x3fb79ee6
	v_add_f64 v[148:149], v[68:69], v[48:49]
	v_add_f64 v[150:151], v[70:71], v[50:51]
	v_add_f64 v[235:236], v[26:27], -v[46:47]
	v_add_f64 v[2:3], v[6:7], v[2:3]
	v_add_f64 v[229:230], v[24:25], -v[44:45]
	v_fma_f64 v[6:7], v[142:143], s[10:11], -v[245:246]
	s_mov_b32 s20, 0xc61f0d01
	s_mov_b32 s38, 0x6c9a05f6
	;; [unrolled: 1-line block ×4, first 2 shown]
	v_add_f64 v[156:157], v[24:25], v[44:45]
	v_add_f64 v[158:159], v[26:27], v[46:47]
	v_add_f64 v[241:242], v[30:31], -v[42:43]
	v_add_f64 v[2:3], v[6:7], v[2:3]
	v_add_f64 v[239:240], v[28:29], -v[40:41]
	s_mov_b32 s22, 0x6ed5f1bb
	s_mov_b32 s42, 0x4363dd80
	s_mov_b32 s23, 0xbfe348c8
	s_mov_b32 s43, 0x3fe0d888
	s_mov_b32 s41, 0xbfe0d888
	s_mov_b32 s40, s42
	v_add_f64 v[166:167], v[28:29], v[40:41]
	v_add_f64 v[170:171], v[30:31], v[42:43]
	s_mov_b32 s24, 0x910ea3b9
	s_mov_b32 s25, 0xbfeb34fa
	v_mul_f64 v[88:89], v[181:182], s[38:39]
	v_mul_f64 v[90:91], v[178:179], s[38:39]
	v_add_f64 v[104:105], v[34:35], -v[38:39]
	v_add_f64 v[102:103], v[32:33], -v[36:37]
	s_mov_b32 s44, 0xacd6c6b4
	s_mov_b32 s45, 0xbfc7851a
	;; [unrolled: 1-line block ×4, first 2 shown]
	v_mul_f64 v[92:93], v[136:137], s[26:27]
	v_add_f64 v[187:188], v[32:33], v[36:37]
	v_mul_f64 v[12:13], v[104:105], s[44:45]
	v_mul_f64 v[14:15], v[102:103], s[44:45]
	v_add_f64 v[189:190], v[34:35], v[38:39]
	v_fma_f64 v[0:1], v[106:107], s[4:5], v[0:1]
	v_mul_f64 v[100:101], v[130:131], s[26:27]
	s_mov_b32 s47, 0x3feec746
	s_mov_b32 s46, s36
	v_fma_f64 v[6:7], v[150:151], s[20:21], -v[10:11]
	v_mul_f64 v[10:11], v[229:230], s[38:39]
	s_mov_b32 s51, 0x3fc7851a
	s_mov_b32 s50, s44
	v_add_f64 v[0:1], v[20:21], v[0:1]
	s_mov_b32 s49, 0x3feca52d
	s_mov_b32 s48, s26
	;; [unrolled: 1-line block ×3, first 2 shown]
	v_add_f64 v[2:3], v[6:7], v[2:3]
	s_mov_b32 s52, s18
	s_mov_b32 s55, 0x3fd71e95
	;; [unrolled: 1-line block ×3, first 2 shown]
	v_add_f64 v[0:1], v[4:5], v[0:1]
	v_fma_f64 v[4:5], v[126:127], s[8:9], v[98:99]
	v_mul_f64 v[251:252], v[178:179], s[50:51]
	v_mul_f64 v[17:18], v[191:192], s[46:47]
	;; [unrolled: 1-line block ×7, first 2 shown]
	v_add_f64 v[0:1], v[4:5], v[0:1]
	v_fma_f64 v[4:5], v[138:139], s[10:11], v[237:238]
	v_mul_f64 v[144:145], v[152:153], s[44:45]
	v_mul_f64 v[124:125], v[181:182], s[46:47]
	;; [unrolled: 1-line block ×7, first 2 shown]
	v_add_f64 v[0:1], v[4:5], v[0:1]
	v_fma_f64 v[4:5], v[148:149], s[20:21], v[8:9]
	v_mul_f64 v[8:9], v[235:236], s[38:39]
	v_mul_f64 v[118:119], v[235:236], s[40:41]
	;; [unrolled: 1-line block ×3, first 2 shown]
	s_mov_b32 s59, 0x3fe9895b
	buffer_store_dword v8, off, s[60:63], 0 offset:72 ; 4-byte Folded Spill
	s_nop 0
	buffer_store_dword v9, off, s[60:63], 0 offset:76 ; 4-byte Folded Spill
	buffer_store_dword v10, off, s[60:63], 0 offset:88 ; 4-byte Folded Spill
	s_nop 0
	buffer_store_dword v11, off, s[60:63], 0 offset:92 ; 4-byte Folded Spill
	v_add_f64 v[0:1], v[4:5], v[0:1]
	s_mov_b32 s58, s38
	v_mul_f64 v[116:117], v[241:242], s[58:59]
	v_mul_f64 v[168:169], v[239:240], s[58:59]
	;; [unrolled: 1-line block ×12, first 2 shown]
	s_mov_b32 s57, 0x3fefdd0d
	s_mov_b32 s56, s34
	v_mul_f64 v[193:194], v[235:236], s[56:57]
	v_mul_f64 v[211:212], v[229:230], s[56:57]
	;; [unrolled: 1-line block ×5, first 2 shown]
	v_fma_f64 v[4:5], v[156:157], s[22:23], v[8:9]
	v_fma_f64 v[6:7], v[158:159], s[22:23], -v[10:11]
	v_mul_f64 v[8:9], v[241:242], s[40:41]
	v_mul_f64 v[10:11], v[239:240], s[40:41]
	buffer_store_dword v8, off, s[60:63], 0 offset:104 ; 4-byte Folded Spill
	s_nop 0
	buffer_store_dword v9, off, s[60:63], 0 offset:108 ; 4-byte Folded Spill
	buffer_store_dword v10, off, s[60:63], 0 offset:120 ; 4-byte Folded Spill
	s_nop 0
	buffer_store_dword v11, off, s[60:63], 0 offset:124 ; 4-byte Folded Spill
	v_add_f64 v[0:1], v[4:5], v[0:1]
	v_add_f64 v[2:3], v[6:7], v[2:3]
	v_fma_f64 v[4:5], v[166:167], s[24:25], v[8:9]
	v_fma_f64 v[6:7], v[170:171], s[24:25], -v[10:11]
	v_mul_f64 v[8:9], v[136:137], s[18:19]
	v_mul_f64 v[10:11], v[130:131], s[18:19]
	buffer_store_dword v8, off, s[60:63], 0 offset:152 ; 4-byte Folded Spill
	s_nop 0
	buffer_store_dword v9, off, s[60:63], 0 offset:156 ; 4-byte Folded Spill
	buffer_store_dword v10, off, s[60:63], 0 offset:328 ; 4-byte Folded Spill
	s_nop 0
	buffer_store_dword v11, off, s[60:63], 0 offset:332 ; 4-byte Folded Spill
	v_add_f64 v[0:1], v[4:5], v[0:1]
	v_add_f64 v[2:3], v[6:7], v[2:3]
	v_fma_f64 v[4:5], v[106:107], s[6:7], v[8:9]
	v_mul_f64 v[8:9], v[154:155], s[34:35]
	v_fma_f64 v[6:7], v[112:113], s[6:7], -v[10:11]
	v_mul_f64 v[10:11], v[152:153], s[34:35]
	buffer_store_dword v8, off, s[60:63], 0 offset:160 ; 4-byte Folded Spill
	s_nop 0
	buffer_store_dword v9, off, s[60:63], 0 offset:164 ; 4-byte Folded Spill
	buffer_store_dword v10, off, s[60:63], 0 offset:312 ; 4-byte Folded Spill
	s_nop 0
	buffer_store_dword v11, off, s[60:63], 0 offset:316 ; 4-byte Folded Spill
	;; [unrolled: 3-line block ×4, first 2 shown]
	v_add_f64 v[4:5], v[20:21], v[4:5]
	v_add_f64 v[6:7], v[22:23], v[6:7]
	buffer_store_dword v12, off, s[60:63], 0 offset:136 ; 4-byte Folded Spill
	s_nop 0
	buffer_store_dword v13, off, s[60:63], 0 offset:140 ; 4-byte Folded Spill
	buffer_store_dword v14, off, s[60:63], 0 offset:144 ; 4-byte Folded Spill
	s_nop 0
	buffer_store_dword v15, off, s[60:63], 0 offset:148 ; 4-byte Folded Spill
	v_fma_f64 v[8:9], v[120:121], s[10:11], v[8:9]
	v_fma_f64 v[10:11], v[128:129], s[10:11], -v[10:11]
	v_fma_f64 v[12:13], v[187:188], s[28:29], v[12:13]
	v_add_f64 v[4:5], v[8:9], v[4:5]
	v_fma_f64 v[8:9], v[126:127], s[22:23], v[88:89]
	v_add_f64 v[6:7], v[10:11], v[6:7]
	v_fma_f64 v[10:11], v[140:141], s[22:23], -v[90:91]
	v_mul_f64 v[88:89], v[183:184], s[44:45]
	v_mul_f64 v[90:91], v[191:192], s[44:45]
	buffer_store_dword v88, off, s[60:63], 0 offset:184 ; 4-byte Folded Spill
	s_nop 0
	buffer_store_dword v89, off, s[60:63], 0 offset:188 ; 4-byte Folded Spill
	buffer_store_dword v90, off, s[60:63], 0 offset:280 ; 4-byte Folded Spill
	s_nop 0
	buffer_store_dword v91, off, s[60:63], 0 offset:284 ; 4-byte Folded Spill
	v_add_f64 v[4:5], v[8:9], v[4:5]
	v_add_f64 v[6:7], v[10:11], v[6:7]
	v_fma_f64 v[14:15], v[189:190], s[28:29], -v[14:15]
	v_add_f64 v[218:219], v[12:13], v[0:1]
	v_mul_f64 v[12:13], v[154:155], s[38:39]
	v_add_f64 v[220:221], v[14:15], v[2:3]
	v_mul_f64 v[14:15], v[152:153], s[38:39]
	v_fma_f64 v[8:9], v[138:139], s[28:29], v[88:89]
	v_fma_f64 v[10:11], v[142:143], s[28:29], -v[90:91]
	v_mul_f64 v[88:89], v[209:210], s[42:43]
	v_mul_f64 v[90:91], v[213:214], s[42:43]
	buffer_store_dword v88, off, s[60:63], 0 offset:200 ; 4-byte Folded Spill
	s_nop 0
	buffer_store_dword v89, off, s[60:63], 0 offset:204 ; 4-byte Folded Spill
	buffer_store_dword v90, off, s[60:63], 0 offset:248 ; 4-byte Folded Spill
	s_nop 0
	buffer_store_dword v91, off, s[60:63], 0 offset:252 ; 4-byte Folded Spill
	;; [unrolled: 3-line block ×3, first 2 shown]
	v_add_f64 v[0:1], v[8:9], v[4:5]
	v_add_f64 v[2:3], v[10:11], v[6:7]
	buffer_store_dword v100, off, s[60:63], 0 offset:432 ; 4-byte Folded Spill
	s_nop 0
	buffer_store_dword v101, off, s[60:63], 0 offset:436 ; 4-byte Folded Spill
	buffer_store_dword v12, off, s[60:63], 0 offset:400 ; 4-byte Folded Spill
	s_nop 0
	buffer_store_dword v13, off, s[60:63], 0 offset:404 ; 4-byte Folded Spill
	;; [unrolled: 3-line block ×3, first 2 shown]
	v_fma_f64 v[4:5], v[148:149], s[24:25], v[88:89]
	v_fma_f64 v[6:7], v[150:151], s[24:25], -v[90:91]
	v_fma_f64 v[8:9], v[106:107], s[8:9], v[92:93]
	v_mul_f64 v[88:89], v[235:236], s[46:47]
	v_mul_f64 v[90:91], v[229:230], s[46:47]
	;; [unrolled: 1-line block ×3, first 2 shown]
	buffer_store_dword v88, off, s[60:63], 0 offset:216 ; 4-byte Folded Spill
	s_nop 0
	buffer_store_dword v89, off, s[60:63], 0 offset:220 ; 4-byte Folded Spill
	buffer_store_dword v90, off, s[60:63], 0 offset:320 ; 4-byte Folded Spill
	s_nop 0
	buffer_store_dword v91, off, s[60:63], 0 offset:324 ; 4-byte Folded Spill
	buffer_store_dword v92, off, s[60:63], 0 offset:408 ; 4-byte Folded Spill
	s_nop 0
	buffer_store_dword v93, off, s[60:63], 0 offset:412 ; 4-byte Folded Spill
	v_add_f64 v[8:9], v[20:21], v[8:9]
	v_fma_f64 v[12:13], v[120:121], s[22:23], v[12:13]
	v_add_f64 v[0:1], v[4:5], v[0:1]
	v_add_f64 v[2:3], v[6:7], v[2:3]
	v_fma_f64 v[10:11], v[112:113], s[8:9], -v[100:101]
	v_fma_f64 v[14:15], v[128:129], s[22:23], -v[14:15]
	v_mul_f64 v[100:101], v[239:240], s[34:35]
	v_add_f64 v[8:9], v[12:13], v[8:9]
	v_add_f64 v[10:11], v[22:23], v[10:11]
	;; [unrolled: 1-line block ×3, first 2 shown]
	v_fma_f64 v[14:15], v[140:141], s[28:29], -v[251:252]
	v_add_f64 v[10:11], v[14:15], v[10:11]
	v_fma_f64 v[14:15], v[142:143], s[20:21], -v[17:18]
	v_add_f64 v[10:11], v[14:15], v[10:11]
	;; [unrolled: 2-line block ×4, first 2 shown]
	v_fma_f64 v[14:15], v[170:171], s[10:11], -v[100:101]
	v_fma_f64 v[4:5], v[156:157], s[20:21], v[88:89]
	v_fma_f64 v[6:7], v[158:159], s[20:21], -v[90:91]
	v_fma_f64 v[12:13], v[126:127], s[28:29], v[92:93]
	v_mul_f64 v[92:93], v[183:184], s[46:47]
	buffer_store_dword v92, off, s[60:63], 0 offset:424 ; 4-byte Folded Spill
	s_nop 0
	buffer_store_dword v93, off, s[60:63], 0 offset:428 ; 4-byte Folded Spill
	v_mul_f64 v[88:89], v[241:242], s[48:49]
	v_mul_f64 v[90:91], v[239:240], s[48:49]
	v_add_f64 v[8:9], v[12:13], v[8:9]
	buffer_store_dword v88, off, s[60:63], 0 offset:232 ; 4-byte Folded Spill
	s_nop 0
	buffer_store_dword v89, off, s[60:63], 0 offset:236 ; 4-byte Folded Spill
	buffer_store_dword v90, off, s[60:63], 0 offset:336 ; 4-byte Folded Spill
	s_nop 0
	buffer_store_dword v91, off, s[60:63], 0 offset:340 ; 4-byte Folded Spill
	v_add_f64 v[0:1], v[4:5], v[0:1]
	v_add_f64 v[2:3], v[6:7], v[2:3]
	v_fma_f64 v[12:13], v[138:139], s[20:21], v[92:93]
	v_mul_f64 v[92:93], v[209:210], s[52:53]
	buffer_store_dword v92, off, s[60:63], 0 offset:376 ; 4-byte Folded Spill
	s_nop 0
	buffer_store_dword v93, off, s[60:63], 0 offset:380 ; 4-byte Folded Spill
	v_add_f64 v[8:9], v[12:13], v[8:9]
	v_fma_f64 v[4:5], v[166:167], s[8:9], v[88:89]
	v_fma_f64 v[6:7], v[170:171], s[8:9], -v[90:91]
	v_mul_f64 v[88:89], v[104:105], s[54:55]
	v_mul_f64 v[90:91], v[102:103], s[54:55]
	v_add_f64 v[0:1], v[4:5], v[0:1]
	v_add_f64 v[2:3], v[6:7], v[2:3]
	v_fma_f64 v[12:13], v[148:149], s[6:7], v[92:93]
	v_mul_f64 v[92:93], v[235:236], s[16:17]
	buffer_store_dword v92, off, s[60:63], 0 offset:352 ; 4-byte Folded Spill
	s_nop 0
	buffer_store_dword v93, off, s[60:63], 0 offset:356 ; 4-byte Folded Spill
	buffer_store_dword v88, off, s[60:63], 0 offset:264 ; 4-byte Folded Spill
	s_nop 0
	buffer_store_dword v89, off, s[60:63], 0 offset:268 ; 4-byte Folded Spill
	;; [unrolled: 3-line block ×3, first 2 shown]
	v_add_f64 v[8:9], v[12:13], v[8:9]
	v_fma_f64 v[12:13], v[156:157], s[4:5], v[92:93]
	v_mul_f64 v[92:93], v[241:242], s[34:35]
	v_fma_f64 v[4:5], v[187:188], s[4:5], v[88:89]
	v_fma_f64 v[6:7], v[189:190], s[4:5], -v[90:91]
	buffer_store_dword v92, off, s[60:63], 0 offset:360 ; 4-byte Folded Spill
	s_nop 0
	buffer_store_dword v93, off, s[60:63], 0 offset:364 ; 4-byte Folded Spill
	v_mul_f64 v[88:89], v[104:105], s[40:41]
	v_mul_f64 v[90:91], v[102:103], s[40:41]
	buffer_store_dword v88, off, s[60:63], 0 offset:368 ; 4-byte Folded Spill
	s_nop 0
	buffer_store_dword v89, off, s[60:63], 0 offset:372 ; 4-byte Folded Spill
	buffer_store_dword v90, off, s[60:63], 0 offset:384 ; 4-byte Folded Spill
	s_nop 0
	buffer_store_dword v91, off, s[60:63], 0 offset:388 ; 4-byte Folded Spill
	v_add_f64 v[8:9], v[12:13], v[8:9]
	v_add_f64 v[222:223], v[4:5], v[0:1]
	;; [unrolled: 1-line block ×4, first 2 shown]
	v_fma_f64 v[12:13], v[166:167], s[10:11], v[92:93]
	v_mul_f64 v[92:93], v[102:103], s[38:39]
	v_add_f64 v[0:1], v[12:13], v[8:9]
	v_fma_f64 v[4:5], v[187:188], s[24:25], v[88:89]
	v_fma_f64 v[6:7], v[189:190], s[24:25], -v[90:91]
	v_fma_f64 v[12:13], v[106:107], s[10:11], v[110:111]
	v_mul_f64 v[88:89], v[181:182], s[52:53]
	v_mul_f64 v[90:91], v[209:210], s[44:45]
	v_add_f64 v[231:232], v[4:5], v[0:1]
	v_add_f64 v[233:234], v[6:7], v[2:3]
	;; [unrolled: 1-line block ×3, first 2 shown]
	v_fma_f64 v[2:3], v[120:121], s[28:29], v[114:115]
	v_fma_f64 v[4:5], v[128:129], s[28:29], -v[144:145]
	v_add_f64 v[0:1], v[2:3], v[0:1]
	v_fma_f64 v[2:3], v[112:113], s[10:11], -v[134:135]
	v_add_f64 v[2:3], v[22:23], v[2:3]
	v_add_f64 v[2:3], v[4:5], v[2:3]
	v_fma_f64 v[4:5], v[126:127], s[20:21], v[124:125]
	v_add_f64 v[0:1], v[4:5], v[0:1]
	v_fma_f64 v[4:5], v[140:141], s[20:21], -v[160:161]
	v_add_f64 v[2:3], v[4:5], v[2:3]
	v_fma_f64 v[4:5], v[138:139], s[4:5], v[122:123]
	v_add_f64 v[0:1], v[4:5], v[0:1]
	v_fma_f64 v[4:5], v[142:143], s[4:5], -v[146:147]
	;; [unrolled: 4-line block ×6, first 2 shown]
	v_add_f64 v[6:7], v[0:1], v[2:3]
	v_fma_f64 v[0:1], v[106:107], s[20:21], v[174:175]
	v_fma_f64 v[2:3], v[120:121], s[24:25], v[176:177]
	buffer_store_dword v4, off, s[60:63], 0 ; 4-byte Folded Spill
	s_nop 0
	buffer_store_dword v5, off, s[60:63], 0 offset:4 ; 4-byte Folded Spill
	buffer_store_dword v6, off, s[60:63], 0 offset:8 ; 4-byte Folded Spill
	;; [unrolled: 1-line block ×3, first 2 shown]
	v_add_f64 v[0:1], v[20:21], v[0:1]
	v_fma_f64 v[4:5], v[128:129], s[24:25], -v[201:202]
	v_add_f64 v[0:1], v[2:3], v[0:1]
	v_fma_f64 v[2:3], v[112:113], s[20:21], -v[199:200]
	v_add_f64 v[2:3], v[22:23], v[2:3]
	v_add_f64 v[2:3], v[4:5], v[2:3]
	v_fma_f64 v[4:5], v[126:127], s[6:7], v[88:89]
	v_add_f64 v[0:1], v[4:5], v[0:1]
	v_fma_f64 v[4:5], v[140:141], s[6:7], -v[205:206]
	v_add_f64 v[2:3], v[4:5], v[2:3]
	v_fma_f64 v[4:5], v[138:139], s[8:9], v[185:186]
	v_add_f64 v[0:1], v[4:5], v[0:1]
	v_fma_f64 v[4:5], v[142:143], s[8:9], -v[203:204]
	;; [unrolled: 4-line block ×6, first 2 shown]
	v_add_f64 v[6:7], v[0:1], v[2:3]
	buffer_store_dword v4, off, s[60:63], 0 offset:16 ; 4-byte Folded Spill
	s_nop 0
	buffer_store_dword v5, off, s[60:63], 0 offset:20 ; 4-byte Folded Spill
	buffer_store_dword v6, off, s[60:63], 0 offset:24 ; 4-byte Folded Spill
	;; [unrolled: 1-line block ×3, first 2 shown]
	s_waitcnt lgkmcnt(0)
	; wave barrier
	s_waitcnt vmcnt(63) expcnt(7) lgkmcnt(15)
	s_and_saveexec_b64 s[30:31], vcc
	s_cbranch_execz .LBB0_7
; %bb.6:
	v_mul_f64 v[0:1], v[112:113], s[28:29]
	v_mul_f64 v[4:5], v[128:129], s[4:5]
	buffer_store_dword v94, off, s[60:63], 0 offset:480 ; 4-byte Folded Spill
	s_nop 0
	buffer_store_dword v95, off, s[60:63], 0 offset:484 ; 4-byte Folded Spill
	buffer_store_dword v96, off, s[60:63], 0 offset:472 ; 4-byte Folded Spill
	s_nop 0
	buffer_store_dword v97, off, s[60:63], 0 offset:476 ; 4-byte Folded Spill
	v_mul_f64 v[96:97], v[154:155], s[54:55]
	buffer_store_dword v98, off, s[60:63], 0 offset:464 ; 4-byte Folded Spill
	s_nop 0
	buffer_store_dword v99, off, s[60:63], 0 offset:468 ; 4-byte Folded Spill
	buffer_store_dword v218, off, s[60:63], 0 offset:32 ; 4-byte Folded Spill
	s_nop 0
	buffer_store_dword v219, off, s[60:63], 0 offset:36 ; 4-byte Folded Spill
	buffer_store_dword v220, off, s[60:63], 0 offset:40 ; 4-byte Folded Spill
	buffer_store_dword v221, off, s[60:63], 0 offset:44 ; 4-byte Folded Spill
	v_mov_b32_e32 v8, v217
	v_fma_f64 v[2:3], v[130:131], s[50:51], v[0:1]
	v_fma_f64 v[6:7], v[152:153], s[16:17], v[4:5]
	v_mov_b32_e32 v13, v222
	v_mov_b32_e32 v14, v223
	v_fma_f64 v[98:99], v[120:121], s[4:5], v[96:97]
	v_mov_b32_e32 v15, v224
	v_mov_b32_e32 v16, v225
	buffer_store_dword v226, off, s[60:63], 0 offset:496 ; 4-byte Folded Spill
	s_nop 0
	buffer_store_dword v227, off, s[60:63], 0 offset:500 ; 4-byte Folded Spill
	v_add_f64 v[2:3], v[22:23], v[2:3]
	v_fma_f64 v[0:1], v[130:131], s[44:45], v[0:1]
	v_fma_f64 v[4:5], v[152:153], s[54:55], v[4:5]
	v_mov_b32_e32 v9, v231
	v_mov_b32_e32 v10, v232
	;; [unrolled: 1-line block ×4, first 2 shown]
	buffer_store_dword v237, off, s[60:63], 0 offset:488 ; 4-byte Folded Spill
	s_nop 0
	buffer_store_dword v238, off, s[60:63], 0 offset:492 ; 4-byte Folded Spill
	v_add_f64 v[2:3], v[6:7], v[2:3]
	v_mul_f64 v[6:7], v[136:137], s[44:45]
	v_add_f64 v[0:1], v[22:23], v[0:1]
	buffer_store_dword v243, off, s[60:63], 0 offset:512 ; 4-byte Folded Spill
	s_nop 0
	buffer_store_dword v244, off, s[60:63], 0 offset:516 ; 4-byte Folded Spill
	buffer_store_dword v245, off, s[60:63], 0 offset:504 ; 4-byte Folded Spill
	s_nop 0
	buffer_store_dword v246, off, s[60:63], 0 offset:508 ; 4-byte Folded Spill
	;; [unrolled: 3-line block ×3, first 2 shown]
	v_add_f64 v[80:81], v[20:21], v[80:81]
	v_add_f64 v[82:83], v[22:23], v[82:83]
	v_fma_f64 v[94:95], v[106:107], s[28:29], v[6:7]
	v_add_f64 v[0:1], v[4:5], v[0:1]
	v_fma_f64 v[4:5], v[106:107], s[28:29], -v[6:7]
	v_fma_f64 v[6:7], v[120:121], s[4:5], -v[96:97]
	v_add_f64 v[84:85], v[80:81], v[84:85]
	v_add_f64 v[86:87], v[82:83], v[86:87]
	;; [unrolled: 1-line block ×5, first 2 shown]
	v_mul_f64 v[98:99], v[140:141], s[24:25]
	v_add_f64 v[4:5], v[6:7], v[4:5]
	v_fma_f64 v[217:218], v[178:179], s[42:43], v[98:99]
	v_fma_f64 v[6:7], v[178:179], s[40:41], v[98:99]
	v_add_f64 v[2:3], v[217:218], v[2:3]
	v_mul_f64 v[217:218], v[181:182], s[40:41]
	v_add_f64 v[0:1], v[6:7], v[0:1]
	v_fma_f64 v[219:220], v[126:127], s[24:25], v[217:218]
	v_fma_f64 v[6:7], v[126:127], s[24:25], -v[217:218]
	v_mul_f64 v[217:218], v[150:151], s[4:5]
	v_add_f64 v[94:95], v[219:220], v[94:95]
	v_mul_f64 v[219:220], v[142:143], s[6:7]
	v_add_f64 v[4:5], v[6:7], v[4:5]
	v_fma_f64 v[221:222], v[191:192], s[18:19], v[219:220]
	v_fma_f64 v[6:7], v[191:192], s[52:53], v[219:220]
	v_mul_f64 v[219:220], v[158:159], s[28:29]
	v_add_f64 v[2:3], v[221:222], v[2:3]
	v_mul_f64 v[221:222], v[183:184], s[52:53]
	v_add_f64 v[0:1], v[6:7], v[0:1]
	v_fma_f64 v[223:224], v[138:139], s[6:7], v[221:222]
	v_fma_f64 v[6:7], v[138:139], s[6:7], -v[221:222]
	v_mul_f64 v[221:222], v[170:171], s[6:7]
	v_add_f64 v[94:95], v[223:224], v[94:95]
	v_mul_f64 v[223:224], v[150:151], s[22:23]
	v_add_f64 v[4:5], v[6:7], v[4:5]
	v_fma_f64 v[225:226], v[213:214], s[58:59], v[223:224]
	v_fma_f64 v[6:7], v[213:214], s[38:39], v[223:224]
	v_mul_f64 v[223:224], v[136:137], s[40:41]
	v_mul_f64 v[136:137], v[136:137], s[38:39]
	v_add_f64 v[2:3], v[225:226], v[2:3]
	v_mul_f64 v[225:226], v[209:210], s[38:39]
	v_add_f64 v[0:1], v[6:7], v[0:1]
	v_fma_f64 v[227:228], v[148:149], s[22:23], v[225:226]
	v_fma_f64 v[6:7], v[148:149], s[22:23], -v[225:226]
	v_mul_f64 v[225:226], v[154:155], s[48:49]
	v_mul_f64 v[154:155], v[154:155], s[46:47]
	v_add_f64 v[94:95], v[227:228], v[94:95]
	v_mul_f64 v[227:228], v[158:159], s[8:9]
	v_add_f64 v[4:5], v[6:7], v[4:5]
	v_fma_f64 v[98:99], v[120:121], s[8:9], v[225:226]
	v_fma_f64 v[231:232], v[229:230], s[26:27], v[227:228]
	v_fma_f64 v[6:7], v[229:230], s[48:49], v[227:228]
	v_mul_f64 v[227:228], v[181:182], s[34:35]
	v_mul_f64 v[181:182], v[181:182], s[16:17]
	v_add_f64 v[2:3], v[231:232], v[2:3]
	v_mul_f64 v[231:232], v[235:236], s[48:49]
	v_add_f64 v[0:1], v[6:7], v[0:1]
	v_fma_f64 v[233:234], v[156:157], s[8:9], v[231:232]
	v_add_f64 v[94:95], v[233:234], v[94:95]
	v_mul_f64 v[233:234], v[170:171], s[20:21]
	v_fma_f64 v[237:238], v[239:240], s[46:47], v[233:234]
	v_fma_f64 v[6:7], v[239:240], s[36:37], v[233:234]
	v_mul_f64 v[233:234], v[209:210], s[16:17]
	v_mul_f64 v[209:210], v[209:210], s[56:57]
	v_add_f64 v[2:3], v[237:238], v[2:3]
	v_mul_f64 v[237:238], v[241:242], s[36:37]
	v_add_f64 v[0:1], v[6:7], v[0:1]
	v_fma_f64 v[6:7], v[156:157], s[8:9], -v[231:232]
	v_mul_f64 v[231:232], v[183:184], s[58:59]
	v_mul_f64 v[183:184], v[183:184], s[40:41]
	v_fma_f64 v[243:244], v[166:167], s[20:21], v[237:238]
	v_add_f64 v[4:5], v[6:7], v[4:5]
	v_fma_f64 v[6:7], v[166:167], s[20:21], -v[237:238]
	v_mul_f64 v[237:238], v[235:236], s[44:45]
	v_add_f64 v[94:95], v[243:244], v[94:95]
	v_mul_f64 v[243:244], v[189:190], s[10:11]
	v_add_f64 v[4:5], v[6:7], v[4:5]
	v_fma_f64 v[245:246], v[102:103], s[34:35], v[243:244]
	v_fma_f64 v[6:7], v[102:103], s[56:57], v[243:244]
	v_mul_f64 v[243:244], v[241:242], s[52:53]
	v_add_f64 v[249:250], v[245:246], v[2:3]
	v_mul_f64 v[2:3], v[104:105], s[56:57]
	v_add_f64 v[6:7], v[6:7], v[0:1]
	v_mul_f64 v[0:1], v[112:113], s[24:25]
	v_fma_f64 v[245:246], v[187:188], s[10:11], v[2:3]
	v_fma_f64 v[2:3], v[187:188], s[10:11], -v[2:3]
	v_add_f64 v[247:248], v[245:246], v[94:95]
	v_add_f64 v[4:5], v[2:3], v[4:5]
	buffer_store_dword v247, off, s[60:63], 0 offset:448 ; 4-byte Folded Spill
	s_nop 0
	buffer_store_dword v248, off, s[60:63], 0 offset:452 ; 4-byte Folded Spill
	buffer_store_dword v249, off, s[60:63], 0 offset:456 ; 4-byte Folded Spill
	;; [unrolled: 1-line block ×4, first 2 shown]
	s_nop 0
	buffer_store_dword v5, off, s[60:63], 0 offset:524 ; 4-byte Folded Spill
	buffer_store_dword v6, off, s[60:63], 0 offset:528 ; 4-byte Folded Spill
	;; [unrolled: 1-line block ×3, first 2 shown]
	v_fma_f64 v[2:3], v[130:131], s[42:43], v[0:1]
	v_mul_f64 v[4:5], v[128:129], s[8:9]
	v_fma_f64 v[0:1], v[130:131], s[40:41], v[0:1]
	v_mul_f64 v[245:246], v[189:190], s[20:21]
	v_add_f64 v[2:3], v[22:23], v[2:3]
	v_fma_f64 v[6:7], v[152:153], s[26:27], v[4:5]
	v_fma_f64 v[4:5], v[152:153], s[48:49], v[4:5]
	v_add_f64 v[0:1], v[22:23], v[0:1]
	v_add_f64 v[2:3], v[6:7], v[2:3]
	v_mul_f64 v[6:7], v[140:141], s[10:11]
	v_add_f64 v[0:1], v[4:5], v[0:1]
	v_fma_f64 v[94:95], v[178:179], s[56:57], v[6:7]
	v_fma_f64 v[4:5], v[178:179], s[34:35], v[6:7]
	v_fma_f64 v[6:7], v[120:121], s[8:9], -v[225:226]
	v_add_f64 v[2:3], v[94:95], v[2:3]
	v_mul_f64 v[94:95], v[142:143], s[22:23]
	v_add_f64 v[0:1], v[4:5], v[0:1]
	v_fma_f64 v[96:97], v[191:192], s[38:39], v[94:95]
	v_fma_f64 v[4:5], v[191:192], s[58:59], v[94:95]
	v_mul_f64 v[94:95], v[142:143], s[24:25]
	v_add_f64 v[2:3], v[96:97], v[2:3]
	v_fma_f64 v[96:97], v[213:214], s[54:55], v[217:218]
	v_add_f64 v[0:1], v[4:5], v[0:1]
	v_fma_f64 v[4:5], v[213:214], s[16:17], v[217:218]
	v_mul_f64 v[217:218], v[170:171], s[28:29]
	v_add_f64 v[2:3], v[96:97], v[2:3]
	v_fma_f64 v[96:97], v[229:230], s[50:51], v[219:220]
	v_add_f64 v[0:1], v[4:5], v[0:1]
	;; [unrolled: 5-line block ×4, first 2 shown]
	v_fma_f64 v[4:5], v[106:107], s[24:25], -v[223:224]
	v_mul_f64 v[223:224], v[189:190], s[8:9]
	v_add_f64 v[96:97], v[20:21], v[96:97]
	v_add_f64 v[4:5], v[20:21], v[4:5]
	;; [unrolled: 1-line block ×3, first 2 shown]
	v_fma_f64 v[98:99], v[126:127], s[10:11], v[227:228]
	v_add_f64 v[4:5], v[6:7], v[4:5]
	v_fma_f64 v[6:7], v[126:127], s[10:11], -v[227:228]
	v_add_f64 v[96:97], v[98:99], v[96:97]
	v_fma_f64 v[98:99], v[138:139], s[22:23], v[231:232]
	v_add_f64 v[4:5], v[6:7], v[4:5]
	v_fma_f64 v[6:7], v[138:139], s[22:23], -v[231:232]
	v_add_f64 v[96:97], v[98:99], v[96:97]
	v_fma_f64 v[98:99], v[148:149], s[4:5], v[233:234]
	v_add_f64 v[4:5], v[6:7], v[4:5]
	v_fma_f64 v[6:7], v[148:149], s[4:5], -v[233:234]
	v_mov_b32_e32 v234, v12
	v_mov_b32_e32 v233, v11
	;; [unrolled: 1-line block ×4, first 2 shown]
	v_add_f64 v[96:97], v[98:99], v[96:97]
	v_fma_f64 v[98:99], v[156:157], s[28:29], v[237:238]
	v_add_f64 v[4:5], v[6:7], v[4:5]
	v_fma_f64 v[6:7], v[156:157], s[28:29], -v[237:238]
	v_add_f64 v[96:97], v[98:99], v[96:97]
	v_fma_f64 v[98:99], v[166:167], s[6:7], v[243:244]
	v_add_f64 v[4:5], v[6:7], v[4:5]
	v_fma_f64 v[6:7], v[166:167], s[6:7], -v[243:244]
	v_add_f64 v[96:97], v[98:99], v[96:97]
	v_fma_f64 v[98:99], v[102:103], s[46:47], v[245:246]
	v_add_f64 v[4:5], v[6:7], v[4:5]
	v_fma_f64 v[6:7], v[102:103], s[36:37], v[245:246]
	v_add_f64 v[249:250], v[98:99], v[2:3]
	v_mul_f64 v[2:3], v[104:105], s[36:37]
	v_add_f64 v[82:83], v[6:7], v[0:1]
	v_add_f64 v[0:1], v[86:87], v[78:79]
	v_mul_f64 v[86:87], v[140:141], s[4:5]
	v_fma_f64 v[78:79], v[120:121], s[20:21], v[154:155]
	v_mul_f64 v[104:105], v[104:105], s[48:49]
	v_fma_f64 v[98:99], v[187:188], s[20:21], v[2:3]
	v_fma_f64 v[2:3], v[187:188], s[20:21], -v[2:3]
	v_add_f64 v[0:1], v[0:1], v[74:75]
	v_fma_f64 v[74:75], v[120:121], s[20:21], -v[154:155]
	v_mul_f64 v[154:155], v[170:171], s[24:25]
	v_add_f64 v[247:248], v[98:99], v[96:97]
	v_add_f64 v[80:81], v[2:3], v[4:5]
	v_mul_f64 v[4:5], v[112:113], s[22:23]
	v_add_f64 v[2:3], v[84:85], v[76:77]
	v_mul_f64 v[84:85], v[128:129], s[20:21]
	v_mul_f64 v[96:97], v[150:151], s[10:11]
	;; [unrolled: 1-line block ×3, first 2 shown]
	v_add_f64 v[0:1], v[0:1], v[70:71]
	v_mul_f64 v[70:71], v[106:107], s[20:21]
	v_fma_f64 v[6:7], v[130:131], s[58:59], v[4:5]
	v_fma_f64 v[4:5], v[130:131], s[38:39], v[4:5]
	;; [unrolled: 1-line block ×3, first 2 shown]
	v_add_f64 v[2:3], v[2:3], v[72:73]
	v_fma_f64 v[72:73], v[152:153], s[46:47], v[84:85]
	v_fma_f64 v[84:85], v[187:188], s[8:9], -v[104:105]
	v_add_f64 v[70:71], v[70:71], -v[174:175]
	v_mul_f64 v[130:131], v[138:139], s[10:11]
	v_add_f64 v[6:7], v[22:23], v[6:7]
	v_add_f64 v[4:5], v[22:23], v[4:5]
	v_mul_f64 v[152:153], v[156:157], s[4:5]
	v_add_f64 v[2:3], v[2:3], v[68:69]
	v_mul_f64 v[68:69], v[128:129], s[24:25]
	v_add_f64 v[0:1], v[0:1], v[26:27]
	v_add_f64 v[70:71], v[20:21], v[70:71]
	;; [unrolled: 1-line block ×3, first 2 shown]
	v_fma_f64 v[76:77], v[178:179], s[54:55], v[86:87]
	v_add_f64 v[4:5], v[72:73], v[4:5]
	v_fma_f64 v[72:73], v[191:192], s[40:41], v[94:95]
	v_add_f64 v[68:69], v[201:202], v[68:69]
	v_add_f64 v[2:3], v[2:3], v[24:25]
	;; [unrolled: 1-line block ×4, first 2 shown]
	v_fma_f64 v[76:77], v[191:192], s[42:43], v[94:95]
	v_mul_f64 v[94:95], v[112:113], s[8:9]
	v_add_f64 v[2:3], v[2:3], v[28:29]
	v_add_f64 v[0:1], v[0:1], v[34:35]
	v_add_f64 v[6:7], v[76:77], v[6:7]
	v_fma_f64 v[76:77], v[213:214], s[34:35], v[96:97]
	v_add_f64 v[2:3], v[2:3], v[32:33]
	v_add_f64 v[0:1], v[0:1], v[38:39]
	v_add_f64 v[6:7], v[76:77], v[6:7]
	v_fma_f64 v[76:77], v[229:230], s[52:53], v[98:99]
	;; [unrolled: 4-line block ×4, first 2 shown]
	v_add_f64 v[2:3], v[2:3], v[44:45]
	v_add_f64 v[0:1], v[0:1], v[50:51]
	;; [unrolled: 1-line block ×6, first 2 shown]
	v_fma_f64 v[78:79], v[126:127], s[4:5], v[181:182]
	v_add_f64 v[2:3], v[2:3], v[52:53]
	v_add_f64 v[0:1], v[0:1], v[58:59]
	;; [unrolled: 1-line block ×3, first 2 shown]
	v_fma_f64 v[78:79], v[138:139], s[24:25], v[183:184]
	v_add_f64 v[2:3], v[2:3], v[56:57]
	v_add_f64 v[0:1], v[0:1], v[62:63]
	;; [unrolled: 1-line block ×3, first 2 shown]
	v_fma_f64 v[78:79], v[148:149], s[10:11], v[209:210]
	v_add_f64 v[2:3], v[2:3], v[60:61]
	v_add_f64 v[76:77], v[78:79], v[76:77]
	v_fma_f64 v[78:79], v[156:157], s[6:7], v[219:220]
	v_add_f64 v[76:77], v[78:79], v[76:77]
	v_fma_f64 v[78:79], v[166:167], s[28:29], v[221:222]
	;; [unrolled: 2-line block ×4, first 2 shown]
	v_mul_f64 v[104:105], v[142:143], s[20:21]
	v_add_f64 v[76:77], v[6:7], v[76:77]
	v_fma_f64 v[6:7], v[178:179], s[16:17], v[86:87]
	v_mul_f64 v[86:87], v[128:129], s[28:29]
	v_add_f64 v[104:105], v[17:18], v[104:105]
	v_add_f64 v[4:5], v[6:7], v[4:5]
	v_fma_f64 v[6:7], v[213:214], s[56:57], v[96:97]
	v_add_f64 v[86:87], v[144:145], v[86:87]
	v_mul_f64 v[96:97], v[128:129], s[22:23]
	v_mul_f64 v[144:145], v[150:151], s[24:25]
	v_add_f64 v[4:5], v[72:73], v[4:5]
	v_fma_f64 v[72:73], v[229:230], s[18:19], v[98:99]
	v_mul_f64 v[98:99], v[166:167], s[22:23]
	v_add_f64 v[4:5], v[6:7], v[4:5]
	v_fma_f64 v[6:7], v[239:240], s[44:45], v[217:218]
	v_mov_b32_e32 v217, v8
	v_add_f64 v[98:99], v[98:99], -v[116:117]
	v_mul_f64 v[116:117], v[128:129], s[6:7]
	v_add_f64 v[4:5], v[72:73], v[4:5]
	v_fma_f64 v[72:73], v[102:103], s[48:49], v[223:224]
	v_mul_f64 v[102:103], v[140:141], s[28:29]
	v_add_f64 v[4:5], v[6:7], v[4:5]
	v_fma_f64 v[6:7], v[106:107], s[22:23], -v[136:137]
	v_add_f64 v[102:103], v[251:252], v[102:103]
	v_mul_f64 v[136:137], v[142:143], s[28:29]
	v_add_f64 v[6:7], v[20:21], v[6:7]
	v_add_f64 v[6:7], v[74:75], v[6:7]
	v_fma_f64 v[74:75], v[126:127], s[4:5], -v[181:182]
	v_add_f64 v[6:7], v[74:75], v[6:7]
	v_fma_f64 v[74:75], v[138:139], s[24:25], -v[183:184]
	;; [unrolled: 2-line block ×5, first 2 shown]
	buffer_load_dword v218, off, s[60:63], 0 offset:32 ; 4-byte Folded Reload
	buffer_load_dword v219, off, s[60:63], 0 offset:36 ; 4-byte Folded Reload
	;; [unrolled: 1-line block ×6, first 2 shown]
	v_mov_b32_e32 v225, v16
	v_mov_b32_e32 v224, v15
	v_mov_b32_e32 v223, v14
	v_mov_b32_e32 v222, v13
	v_add_f64 v[6:7], v[74:75], v[6:7]
	v_add_f64 v[74:75], v[72:73], v[4:5]
	v_mul_f64 v[4:5], v[140:141], s[6:7]
	v_add_f64 v[72:73], v[84:85], v[6:7]
	v_mul_f64 v[6:7], v[112:113], s[20:21]
	;; [unrolled: 2-line block ×3, first 2 shown]
	v_add_f64 v[6:7], v[199:200], v[6:7]
	v_add_f64 v[84:85], v[84:85], -v[176:177]
	v_add_f64 v[6:7], v[22:23], v[6:7]
	v_add_f64 v[70:71], v[84:85], v[70:71]
	v_mul_f64 v[84:85], v[138:139], s[8:9]
	v_add_f64 v[6:7], v[68:69], v[6:7]
	v_mul_f64 v[68:69], v[142:143], s[8:9]
	v_add_f64 v[84:85], v[84:85], -v[185:186]
	v_add_f64 v[4:5], v[4:5], v[6:7]
	v_add_f64 v[68:69], v[203:204], v[68:69]
	v_mul_f64 v[6:7], v[150:151], s[28:29]
	v_add_f64 v[4:5], v[68:69], v[4:5]
	v_add_f64 v[6:7], v[207:208], v[6:7]
	v_mul_f64 v[68:69], v[158:159], s[10:11]
	;; [unrolled: 3-line block ×4, first 2 shown]
	s_waitcnt vmcnt(0)
	v_add_f64 v[94:95], v[8:9], v[94:95]
	buffer_load_dword v8, off, s[60:63], 0 offset:440 ; 4-byte Folded Reload
	buffer_load_dword v9, off, s[60:63], 0 offset:444 ; 4-byte Folded Reload
	v_add_f64 v[4:5], v[6:7], v[4:5]
	v_mul_f64 v[6:7], v[126:127], s[6:7]
	v_add_f64 v[68:69], v[92:93], v[68:69]
	v_mul_f64 v[92:93], v[120:121], s[28:29]
	v_add_f64 v[94:95], v[22:23], v[94:95]
	v_add_f64 v[6:7], v[6:7], -v[88:89]
	v_add_f64 v[68:69], v[68:69], v[4:5]
	v_add_f64 v[92:93], v[92:93], -v[114:115]
	v_mul_f64 v[114:115], v[150:151], s[6:7]
	v_add_f64 v[6:7], v[6:7], v[70:71]
	v_mul_f64 v[70:71], v[148:149], s[28:29]
	v_add_f64 v[114:115], v[253:254], v[114:115]
	v_add_f64 v[6:7], v[84:85], v[6:7]
	v_add_f64 v[70:71], v[70:71], -v[90:91]
	v_mul_f64 v[84:85], v[156:157], s[10:11]
	v_mul_f64 v[90:91], v[106:107], s[10:11]
	v_add_f64 v[6:7], v[70:71], v[6:7]
	v_add_f64 v[84:85], v[84:85], -v[193:194]
	v_mul_f64 v[70:71], v[166:167], s[4:5]
	v_add_f64 v[90:91], v[90:91], -v[110:111]
	v_mul_f64 v[110:111], v[112:113], s[4:5]
	v_add_f64 v[6:7], v[84:85], v[6:7]
	v_mul_f64 v[84:85], v[187:188], s[22:23]
	v_add_f64 v[70:71], v[70:71], -v[195:196]
	v_add_f64 v[90:91], v[20:21], v[90:91]
	v_add_f64 v[88:89], v[84:85], -v[197:198]
	v_mul_f64 v[84:85], v[112:113], s[10:11]
	v_add_f64 v[6:7], v[70:71], v[6:7]
	v_mul_f64 v[70:71], v[140:141], s[20:21]
	v_add_f64 v[90:91], v[92:93], v[90:91]
	v_mul_f64 v[92:93], v[138:139], s[4:5]
	v_mul_f64 v[112:113], v[112:113], s[6:7]
	v_add_f64 v[84:85], v[134:135], v[84:85]
	v_mul_f64 v[134:135], v[138:139], s[28:29]
	v_add_f64 v[70:71], v[160:161], v[70:71]
	v_mul_f64 v[160:161], v[187:188], s[28:29]
	v_add_f64 v[92:93], v[92:93], -v[122:123]
	v_mul_f64 v[122:123], v[126:127], s[8:9]
	v_add_f64 v[84:85], v[22:23], v[84:85]
	v_add_f64 v[84:85], v[86:87], v[84:85]
	v_mul_f64 v[86:87], v[142:143], s[4:5]
	s_waitcnt vmcnt(0)
	v_add_f64 v[96:97], v[8:9], v[96:97]
	buffer_load_dword v8, off, s[60:63], 0 offset:536 ; 4-byte Folded Reload
	buffer_load_dword v9, off, s[60:63], 0 offset:540 ; 4-byte Folded Reload
	v_add_f64 v[70:71], v[70:71], v[84:85]
	v_add_f64 v[86:87], v[146:147], v[86:87]
	v_mul_f64 v[84:85], v[150:151], s[8:9]
	v_add_f64 v[94:95], v[96:97], v[94:95]
	v_mul_f64 v[96:97], v[187:188], s[6:7]
	v_mul_f64 v[146:147], v[148:149], s[6:7]
	v_add_f64 v[70:71], v[86:87], v[70:71]
	v_add_f64 v[84:85], v[162:163], v[84:85]
	v_mul_f64 v[86:87], v[158:159], s[24:25]
	v_add_f64 v[94:95], v[102:103], v[94:95]
	v_mul_f64 v[102:103], v[170:171], s[10:11]
	v_add_f64 v[96:97], v[96:97], -v[108:109]
	v_mul_f64 v[108:109], v[120:121], s[6:7]
	v_mul_f64 v[162:163], v[187:188], s[4:5]
	v_add_f64 v[70:71], v[84:85], v[70:71]
	v_add_f64 v[86:87], v[164:165], v[86:87]
	v_mul_f64 v[84:85], v[170:171], s[22:23]
	v_add_f64 v[94:95], v[104:105], v[94:95]
	v_mul_f64 v[104:105], v[138:139], s[20:21]
	;; [unrolled: 2-line block ×3, first 2 shown]
	v_mul_f64 v[120:121], v[120:121], s[22:23]
	v_mul_f64 v[138:139], v[148:149], s[20:21]
	v_add_f64 v[70:71], v[86:87], v[70:71]
	v_add_f64 v[84:85], v[168:169], v[84:85]
	v_mul_f64 v[86:87], v[189:190], s[6:7]
	v_add_f64 v[94:95], v[114:115], v[94:95]
	v_mul_f64 v[114:115], v[140:141], s[8:9]
	v_mul_f64 v[164:165], v[187:188], s[24:25]
	v_add_f64 v[70:71], v[84:85], v[70:71]
	v_mul_f64 v[84:85], v[126:127], s[20:21]
	v_add_f64 v[86:87], v[172:173], v[86:87]
	v_add_f64 v[84:85], v[84:85], -v[124:125]
	v_mul_f64 v[124:125], v[126:127], s[22:23]
	v_mul_f64 v[126:127], v[126:127], s[28:29]
	v_add_f64 v[86:87], v[86:87], v[70:71]
	v_add_f64 v[84:85], v[84:85], v[90:91]
	v_mul_f64 v[90:91], v[148:149], s[8:9]
	v_add_f64 v[84:85], v[92:93], v[84:85]
	v_add_f64 v[90:91], v[90:91], -v[132:133]
	v_mul_f64 v[92:93], v[156:157], s[24:25]
	v_mul_f64 v[132:133], v[142:143], s[10:11]
	;; [unrolled: 1-line block ×4, first 2 shown]
	v_add_f64 v[84:85], v[90:91], v[84:85]
	v_add_f64 v[92:93], v[92:93], -v[118:119]
	v_mul_f64 v[90:91], v[106:107], s[4:5]
	v_mul_f64 v[118:119], v[128:129], s[10:11]
	;; [unrolled: 1-line block ×5, first 2 shown]
	v_add_f64 v[84:85], v[92:93], v[84:85]
	v_mul_f64 v[92:93], v[106:107], s[6:7]
	v_mul_f64 v[106:107], v[106:107], s[8:9]
	v_add_f64 v[84:85], v[98:99], v[84:85]
	v_mul_f64 v[98:99], v[158:159], s[4:5]
	v_mul_f64 v[158:159], v[166:167], s[10:11]
	v_add_f64 v[84:85], v[96:97], v[84:85]
	s_waitcnt vmcnt(0)
	v_add_f64 v[98:99], v[8:9], v[98:99]
	buffer_load_dword v8, off, s[60:63], 0 offset:424 ; 4-byte Folded Reload
	buffer_load_dword v9, off, s[60:63], 0 offset:428 ; 4-byte Folded Reload
	v_add_f64 v[4:5], v[98:99], v[94:95]
	v_add_f64 v[4:5], v[100:101], v[4:5]
	s_waitcnt vmcnt(0)
	v_add_f64 v[104:105], v[104:105], -v[8:9]
	buffer_load_dword v8, off, s[60:63], 0 offset:392 ; 4-byte Folded Reload
	buffer_load_dword v9, off, s[60:63], 0 offset:396 ; 4-byte Folded Reload
	s_waitcnt vmcnt(0)
	v_add_f64 v[106:107], v[106:107], -v[8:9]
	buffer_load_dword v8, off, s[60:63], 0 offset:328 ; 4-byte Folded Reload
	buffer_load_dword v9, off, s[60:63], 0 offset:332 ; 4-byte Folded Reload
	v_add_f64 v[106:107], v[20:21], v[106:107]
	s_waitcnt vmcnt(0)
	v_add_f64 v[112:113], v[8:9], v[112:113]
	buffer_load_dword v8, off, s[60:63], 0 offset:400 ; 4-byte Folded Reload
	buffer_load_dword v9, off, s[60:63], 0 offset:404 ; 4-byte Folded Reload
	v_add_f64 v[112:113], v[22:23], v[112:113]
	s_waitcnt vmcnt(0)
	v_add_f64 v[120:121], v[120:121], -v[8:9]
	buffer_load_dword v8, off, s[60:63], 0 offset:408 ; 4-byte Folded Reload
	buffer_load_dword v9, off, s[60:63], 0 offset:412 ; 4-byte Folded Reload
	v_add_f64 v[106:107], v[120:121], v[106:107]
	v_mul_f64 v[120:121], v[156:157], s[22:23]
	s_waitcnt vmcnt(0)
	v_add_f64 v[126:127], v[126:127], -v[8:9]
	buffer_load_dword v8, off, s[60:63], 0 offset:312 ; 4-byte Folded Reload
	buffer_load_dword v9, off, s[60:63], 0 offset:316 ; 4-byte Folded Reload
	v_add_f64 v[106:107], v[126:127], v[106:107]
	v_mul_f64 v[126:127], v[166:167], s[24:25]
	v_add_f64 v[104:105], v[104:105], v[106:107]
	v_mul_f64 v[106:107], v[189:190], s[28:29]
	s_waitcnt vmcnt(0)
	v_add_f64 v[118:119], v[8:9], v[118:119]
	buffer_load_dword v8, off, s[60:63], 0 offset:296 ; 4-byte Folded Reload
	buffer_load_dword v9, off, s[60:63], 0 offset:300 ; 4-byte Folded Reload
	v_add_f64 v[112:113], v[118:119], v[112:113]
	v_mul_f64 v[118:119], v[156:157], s[20:21]
	v_mul_f64 v[156:157], v[170:171], s[8:9]
	s_waitcnt vmcnt(0)
	v_add_f64 v[128:129], v[8:9], v[128:129]
	buffer_load_dword v8, off, s[60:63], 0 offset:280 ; 4-byte Folded Reload
	buffer_load_dword v9, off, s[60:63], 0 offset:284 ; 4-byte Folded Reload
	v_add_f64 v[112:113], v[128:129], v[112:113]
	v_mul_f64 v[128:129], v[166:167], s[8:9]
	v_mul_f64 v[166:167], v[189:190], s[24:25]
	s_waitcnt vmcnt(0)
	v_add_f64 v[136:137], v[8:9], v[136:137]
	buffer_load_dword v8, off, s[60:63], 0 offset:376 ; 4-byte Folded Reload
	buffer_load_dword v9, off, s[60:63], 0 offset:380 ; 4-byte Folded Reload
	v_add_f64 v[112:113], v[136:137], v[112:113]
	v_mul_f64 v[136:137], v[189:190], s[4:5]
	s_waitcnt vmcnt(0)
	v_add_f64 v[146:147], v[146:147], -v[8:9]
	buffer_load_dword v8, off, s[60:63], 0 offset:248 ; 4-byte Folded Reload
	buffer_load_dword v9, off, s[60:63], 0 offset:252 ; 4-byte Folded Reload
	v_add_f64 v[98:99], v[146:147], v[104:105]
	s_waitcnt vmcnt(0)
	v_add_f64 v[144:145], v[8:9], v[144:145]
	buffer_load_dword v8, off, s[60:63], 0 offset:320 ; 4-byte Folded Reload
	buffer_load_dword v9, off, s[60:63], 0 offset:324 ; 4-byte Folded Reload
	v_add_f64 v[94:95], v[144:145], v[112:113]
	s_waitcnt vmcnt(0)
	v_add_f64 v[70:71], v[8:9], v[150:151]
	;; [unrolled: 5-line block ×3, first 2 shown]
	buffer_load_dword v8, off, s[60:63], 0 offset:352 ; 4-byte Folded Reload
	buffer_load_dword v9, off, s[60:63], 0 offset:356 ; 4-byte Folded Reload
	s_waitcnt vmcnt(0)
	v_add_f64 v[26:27], v[152:153], -v[8:9]
	buffer_load_dword v8, off, s[60:63], 0 offset:336 ; 4-byte Folded Reload
	buffer_load_dword v9, off, s[60:63], 0 offset:340 ; 4-byte Folded Reload
	v_add_f64 v[26:27], v[26:27], v[98:99]
	s_waitcnt vmcnt(0)
	v_add_f64 v[100:101], v[8:9], v[156:157]
	buffer_load_dword v8, off, s[60:63], 0 offset:368 ; 4-byte Folded Reload
	buffer_load_dword v9, off, s[60:63], 0 offset:372 ; 4-byte Folded Reload
	v_add_f64 v[70:71], v[100:101], v[70:71]
	s_waitcnt vmcnt(0)
	v_add_f64 v[94:95], v[164:165], -v[8:9]
	buffer_load_dword v8, off, s[60:63], 0 offset:360 ; 4-byte Folded Reload
	buffer_load_dword v9, off, s[60:63], 0 offset:364 ; 4-byte Folded Reload
	s_waitcnt vmcnt(0)
	v_add_f64 v[28:29], v[158:159], -v[8:9]
	buffer_load_dword v8, off, s[60:63], 0 offset:344 ; 4-byte Folded Reload
	buffer_load_dword v9, off, s[60:63], 0 offset:348 ; 4-byte Folded Reload
	v_add_f64 v[46:47], v[28:29], v[26:27]
	s_waitcnt vmcnt(0)
	v_add_f64 v[30:31], v[8:9], v[136:137]
	buffer_load_dword v8, off, s[60:63], 0 offset:480 ; 4-byte Folded Reload
	buffer_load_dword v9, off, s[60:63], 0 offset:484 ; 4-byte Folded Reload
	v_add_f64 v[26:27], v[30:31], v[70:71]
	s_waitcnt vmcnt(0)
	v_add_f64 v[98:99], v[8:9], v[110:111]
	buffer_load_dword v8, off, s[60:63], 0 offset:416 ; 4-byte Folded Reload
	buffer_load_dword v9, off, s[60:63], 0 offset:420 ; 4-byte Folded Reload
	v_add_f64 v[22:23], v[22:23], v[98:99]
	s_waitcnt vmcnt(0)
	v_add_f64 v[32:33], v[90:91], -v[8:9]
	buffer_load_dword v8, off, s[60:63], 0 offset:152 ; 4-byte Folded Reload
	buffer_load_dword v9, off, s[60:63], 0 offset:156 ; 4-byte Folded Reload
	v_add_f64 v[32:33], v[20:21], v[32:33]
	s_waitcnt vmcnt(0)
	v_add_f64 v[34:35], v[92:93], -v[8:9]
	;; [unrolled: 5-line block ×3, first 2 shown]
	buffer_load_dword v8, off, s[60:63], 0 offset:496 ; 4-byte Folded Reload
	buffer_load_dword v9, off, s[60:63], 0 offset:500 ; 4-byte Folded Reload
	v_add_f64 v[20:21], v[90:91], v[20:21]
	s_waitcnt vmcnt(0)
	v_add_f64 v[92:93], v[8:9], v[116:117]
	buffer_load_dword v8, off, s[60:63], 0 offset:472 ; 4-byte Folded Reload
	buffer_load_dword v9, off, s[60:63], 0 offset:476 ; 4-byte Folded Reload
	v_add_f64 v[22:23], v[92:93], v[22:23]
	s_waitcnt vmcnt(0)
	v_add_f64 v[98:99], v[108:109], -v[8:9]
	buffer_load_dword v8, off, s[60:63], 0 offset:168 ; 4-byte Folded Reload
	buffer_load_dword v9, off, s[60:63], 0 offset:172 ; 4-byte Folded Reload
	v_add_f64 v[32:33], v[98:99], v[32:33]
	s_waitcnt vmcnt(0)
	v_add_f64 v[34:35], v[124:125], -v[8:9]
	buffer_load_dword v8, off, s[60:63], 0 offset:512 ; 4-byte Folded Reload
	buffer_load_dword v9, off, s[60:63], 0 offset:516 ; 4-byte Folded Reload
	v_add_f64 v[20:21], v[34:35], v[20:21]
	s_waitcnt vmcnt(0)
	v_add_f64 v[36:37], v[8:9], v[114:115]
	buffer_load_dword v8, off, s[60:63], 0 offset:464 ; 4-byte Folded Reload
	buffer_load_dword v9, off, s[60:63], 0 offset:468 ; 4-byte Folded Reload
	v_add_f64 v[22:23], v[36:37], v[22:23]
	s_waitcnt vmcnt(0)
	v_add_f64 v[38:39], v[122:123], -v[8:9]
	buffer_load_dword v8, off, s[60:63], 0 offset:184 ; 4-byte Folded Reload
	buffer_load_dword v9, off, s[60:63], 0 offset:188 ; 4-byte Folded Reload
	v_add_f64 v[32:33], v[38:39], v[32:33]
	s_waitcnt vmcnt(0)
	v_add_f64 v[40:41], v[134:135], -v[8:9]
	;; [unrolled: 15-line block ×5, first 2 shown]
	buffer_load_dword v8, off, s[60:63], 0 offset:120 ; 4-byte Folded Reload
	buffer_load_dword v9, off, s[60:63], 0 offset:124 ; 4-byte Folded Reload
	v_add_f64 v[20:21], v[34:35], v[20:21]
	v_add_f64 v[34:35], v[0:1], v[66:67]
	;; [unrolled: 1-line block ×3, first 2 shown]
	v_mul_lo_u16_e32 v0, 17, v255
	v_lshlrev_b32_e32 v0, 4, v0
	s_waitcnt vmcnt(0)
	v_add_f64 v[42:43], v[8:9], v[154:155]
	buffer_load_dword v8, off, s[60:63], 0 offset:104 ; 4-byte Folded Reload
	buffer_load_dword v9, off, s[60:63], 0 offset:108 ; 4-byte Folded Reload
	v_add_f64 v[42:43], v[42:43], v[22:23]
	v_add_f64 v[22:23], v[24:25], v[4:5]
	s_waitcnt vmcnt(0)
	v_add_f64 v[40:41], v[126:127], -v[8:9]
	buffer_load_dword v8, off, s[60:63], 0 offset:264 ; 4-byte Folded Reload
	buffer_load_dword v9, off, s[60:63], 0 offset:268 ; 4-byte Folded Reload
	v_add_f64 v[40:41], v[40:41], v[32:33]
	v_add_f64 v[32:33], v[2:3], v[64:65]
	s_waitcnt vmcnt(0)
	v_add_f64 v[36:37], v[162:163], -v[8:9]
	buffer_load_dword v8, off, s[60:63], 0 offset:144 ; 4-byte Folded Reload
	buffer_load_dword v9, off, s[60:63], 0 offset:148 ; 4-byte Folded Reload
	v_add_f64 v[24:25], v[36:37], v[20:21]
	v_add_f64 v[20:21], v[94:95], v[46:47]
	s_waitcnt vmcnt(0)
	v_add_f64 v[38:39], v[8:9], v[106:107]
	buffer_load_dword v8, off, s[60:63], 0 offset:136 ; 4-byte Folded Reload
	buffer_load_dword v9, off, s[60:63], 0 offset:140 ; 4-byte Folded Reload
	v_add_f64 v[30:31], v[38:39], v[42:43]
	s_waitcnt vmcnt(0)
	v_add_f64 v[44:45], v[160:161], -v[8:9]
	v_add_f64 v[28:29], v[44:45], v[40:41]
	ds_write_b128 v0, v[32:35]
	ds_write_b128 v0, v[28:31] offset:16
	ds_write_b128 v0, v[24:27] offset:32
	;; [unrolled: 1-line block ×7, first 2 shown]
	buffer_load_dword v1, off, s[60:63], 0 offset:520 ; 4-byte Folded Reload
	buffer_load_dword v2, off, s[60:63], 0 offset:524 ; 4-byte Folded Reload
	;; [unrolled: 1-line block ×4, first 2 shown]
	s_waitcnt vmcnt(0)
	ds_write_b128 v0, v[1:4] offset:128
	buffer_load_dword v1, off, s[60:63], 0 offset:448 ; 4-byte Folded Reload
	buffer_load_dword v2, off, s[60:63], 0 offset:452 ; 4-byte Folded Reload
	;; [unrolled: 1-line block ×4, first 2 shown]
	s_waitcnt vmcnt(0)
	ds_write_b128 v0, v[1:4] offset:144
	ds_write_b128 v0, v[247:250] offset:160
	;; [unrolled: 1-line block ×3, first 2 shown]
	buffer_load_dword v1, off, s[60:63], 0 offset:16 ; 4-byte Folded Reload
	buffer_load_dword v2, off, s[60:63], 0 offset:20 ; 4-byte Folded Reload
	;; [unrolled: 1-line block ×4, first 2 shown]
	s_waitcnt vmcnt(0)
	ds_write_b128 v0, v[1:4] offset:192
	buffer_load_dword v1, off, s[60:63], 0  ; 4-byte Folded Reload
	buffer_load_dword v2, off, s[60:63], 0 offset:4 ; 4-byte Folded Reload
	buffer_load_dword v3, off, s[60:63], 0 offset:8 ; 4-byte Folded Reload
	;; [unrolled: 1-line block ×3, first 2 shown]
	s_waitcnt vmcnt(0)
	ds_write_b128 v0, v[1:4] offset:208
	ds_write_b128 v0, v[231:234] offset:224
	ds_write_b128 v0, v[13:16] offset:240
	ds_write_b128 v0, v[218:221] offset:256
.LBB0_7:
	s_or_b64 exec, exec, s[30:31]
	s_load_dwordx4 s[4:7], s[2:3], 0x0
	s_movk_i32 s2, 0xf1
	v_mul_lo_u16_sdwa v0, v255, s2 dst_sel:DWORD dst_unused:UNUSED_PAD src0_sel:BYTE_0 src1_sel:DWORD
	v_lshrrev_b16_e32 v8, 12, v0
	v_mul_lo_u16_e32 v0, 17, v8
	v_sub_u16_e32 v9, v255, v0
	v_add_u16_e32 v0, 51, v255
	v_mul_lo_u16_sdwa v1, v0, s2 dst_sel:DWORD dst_unused:UNUSED_PAD src0_sel:BYTE_0 src1_sel:DWORD
	v_lshrrev_b16_e32 v10, 12, v1
	v_mul_lo_u16_e32 v1, 17, v10
	v_sub_u16_e32 v0, v0, v1
	v_and_b32_e32 v11, 0xff, v0
	v_lshlrev_b32_e32 v0, 5, v11
	s_waitcnt lgkmcnt(0)
	; wave barrier
	s_waitcnt lgkmcnt(0)
	global_load_dwordx4 v[32:35], v0, s[0:1] offset:16
	global_load_dwordx4 v[36:39], v0, s[0:1]
	v_add_u16_e32 v0, 0x66, v255
	v_mul_lo_u16_sdwa v1, v0, s2 dst_sel:DWORD dst_unused:UNUSED_PAD src0_sel:BYTE_0 src1_sel:DWORD
	v_lshrrev_b16_e32 v12, 12, v1
	v_mul_lo_u16_e32 v1, 17, v12
	v_sub_u16_e32 v0, v0, v1
	v_and_b32_e32 v13, 0xff, v0
	v_lshlrev_b32_e32 v0, 5, v13
	global_load_dwordx4 v[158:161], v0, s[0:1] offset:16
	global_load_dwordx4 v[40:43], v0, s[0:1]
	v_add_u16_e32 v0, 0x99, v255
	v_mul_lo_u16_sdwa v1, v0, s2 dst_sel:DWORD dst_unused:UNUSED_PAD src0_sel:BYTE_0 src1_sel:DWORD
	v_lshrrev_b16_e32 v14, 12, v1
	v_mul_lo_u16_e32 v1, 17, v14
	v_sub_u16_e32 v0, v0, v1
	v_and_b32_e32 v15, 0xff, v0
	v_lshlrev_b32_e32 v0, 5, v15
	global_load_dwordx4 v[162:165], v0, s[0:1] offset:16
	global_load_dwordx4 v[166:169], v0, s[0:1]
	v_lshlrev_b16_e32 v0, 1, v9
	v_and_b32_e32 v0, 0xfe, v0
	v_lshlrev_b32_e32 v0, 4, v0
	global_load_dwordx4 v[26:29], v0, s[0:1]
	global_load_dwordx4 v[52:55], v0, s[0:1] offset:16
	v_mov_b32_e32 v16, 4
	v_lshlrev_b32_sdwa v245, v16, v255 dst_sel:DWORD dst_unused:UNUSED_PAD src0_sel:DWORD src1_sel:WORD_0
	ds_read_b128 v[44:47], v245
	ds_read_b128 v[48:51], v245 offset:816
	ds_read_b128 v[56:59], v245 offset:3264
	;; [unrolled: 1-line block ×11, first 2 shown]
	s_mov_b32 s2, 0xe8584caa
	s_mov_b32 s3, 0x3febb67a
	;; [unrolled: 1-line block ×4, first 2 shown]
	s_movk_i32 s10, 0x50
	s_waitcnt lgkmcnt(0)
	; wave barrier
	s_waitcnt lgkmcnt(0)
	s_movk_i32 s11, 0x1000
	v_lshlrev_b32_e32 v246, 4, v255
	s_waitcnt vmcnt(7)
	v_mul_f64 v[4:5], v[74:75], v[34:35]
	s_waitcnt vmcnt(6)
	v_mul_f64 v[0:1], v[66:67], v[38:39]
	v_mul_f64 v[2:3], v[64:65], v[38:39]
	;; [unrolled: 1-line block ×3, first 2 shown]
	s_waitcnt vmcnt(5)
	v_mul_f64 v[104:105], v[94:95], v[160:161]
	s_waitcnt vmcnt(4)
	v_mul_f64 v[100:101], v[86:87], v[42:43]
	v_fma_f64 v[0:1], v[64:65], v[36:37], -v[0:1]
	v_fma_f64 v[2:3], v[66:67], v[36:37], v[2:3]
	v_fma_f64 v[4:5], v[72:73], v[32:33], -v[4:5]
	v_fma_f64 v[6:7], v[74:75], v[32:33], v[6:7]
	v_mul_f64 v[102:103], v[84:85], v[42:43]
	v_mul_f64 v[106:107], v[92:93], v[160:161]
	s_waitcnt vmcnt(3)
	v_mul_f64 v[112:113], v[98:99], v[164:165]
	s_waitcnt vmcnt(2)
	v_mul_f64 v[108:109], v[90:91], v[168:169]
	v_mul_f64 v[114:115], v[96:97], v[164:165]
	v_fma_f64 v[100:101], v[84:85], v[40:41], -v[100:101]
	s_waitcnt vmcnt(1)
	v_mul_f64 v[116:117], v[58:59], v[28:29]
	v_mul_f64 v[118:119], v[56:57], v[28:29]
	s_waitcnt vmcnt(0)
	v_mul_f64 v[120:121], v[70:71], v[54:55]
	v_mul_f64 v[122:123], v[68:69], v[54:55]
	v_fma_f64 v[92:93], v[92:93], v[158:159], -v[104:105]
	v_add_f64 v[72:73], v[2:3], -v[6:7]
	v_add_f64 v[74:75], v[50:51], v[2:3]
	v_add_f64 v[2:3], v[2:3], v[6:7]
	v_fma_f64 v[56:57], v[56:57], v[26:27], -v[116:117]
	v_fma_f64 v[58:59], v[58:59], v[26:27], v[118:119]
	v_fma_f64 v[64:65], v[68:69], v[52:53], -v[120:121]
	v_fma_f64 v[66:67], v[70:71], v[52:53], v[122:123]
	v_add_f64 v[68:69], v[48:49], v[0:1]
	v_add_f64 v[70:71], v[0:1], v[4:5]
	v_mul_f64 v[110:111], v[88:89], v[168:169]
	v_fma_f64 v[86:87], v[86:87], v[40:41], v[102:103]
	v_fma_f64 v[94:95], v[94:95], v[158:159], v[106:107]
	v_fma_f64 v[102:103], v[88:89], v[166:167], -v[108:109]
	v_fma_f64 v[96:97], v[96:97], v[162:163], -v[112:113]
	v_fma_f64 v[98:99], v[98:99], v[162:163], v[114:115]
	v_add_f64 v[0:1], v[0:1], -v[4:5]
	v_add_f64 v[88:89], v[100:101], v[92:93]
	v_add_f64 v[106:107], v[44:45], v[56:57]
	;; [unrolled: 1-line block ×5, first 2 shown]
	v_add_f64 v[116:117], v[56:57], -v[64:65]
	v_add_f64 v[56:57], v[68:69], v[4:5]
	v_fma_f64 v[4:5], v[70:71], -0.5, v[48:49]
	v_fma_f64 v[2:3], v[2:3], -0.5, v[50:51]
	v_fma_f64 v[90:91], v[90:91], v[166:167], v[110:111]
	v_add_f64 v[84:85], v[76:77], v[100:101]
	v_add_f64 v[104:105], v[86:87], -v[94:95]
	v_add_f64 v[110:111], v[58:59], -v[66:67]
	v_add_f64 v[58:59], v[74:75], v[6:7]
	v_fma_f64 v[6:7], v[108:109], -0.5, v[44:45]
	v_fma_f64 v[88:89], v[88:89], -0.5, v[76:77]
	;; [unrolled: 1-line block ×3, first 2 shown]
	v_add_f64 v[44:45], v[106:107], v[64:65]
	v_add_f64 v[46:47], v[112:113], v[66:67]
	v_fma_f64 v[48:49], v[72:73], s[2:3], v[4:5]
	v_fma_f64 v[64:65], v[72:73], s[8:9], v[4:5]
	;; [unrolled: 1-line block ×3, first 2 shown]
	v_add_f64 v[4:5], v[86:87], v[94:95]
	v_fma_f64 v[66:67], v[0:1], s[2:3], v[2:3]
	v_add_f64 v[0:1], v[102:103], v[96:97]
	v_add_f64 v[2:3], v[90:91], v[98:99]
	;; [unrolled: 1-line block ×3, first 2 shown]
	v_fma_f64 v[84:85], v[104:105], s[2:3], v[88:89]
	v_fma_f64 v[88:89], v[104:105], s[8:9], v[88:89]
	v_add_f64 v[92:93], v[100:101], -v[92:93]
	v_fma_f64 v[4:5], v[4:5], -0.5, v[78:79]
	v_add_f64 v[100:101], v[80:81], v[102:103]
	v_fma_f64 v[0:1], v[0:1], -0.5, v[80:81]
	v_add_f64 v[104:105], v[90:91], -v[98:99]
	v_fma_f64 v[68:69], v[110:111], s[2:3], v[6:7]
	v_fma_f64 v[72:73], v[110:111], s[8:9], v[6:7]
	v_add_f64 v[6:7], v[78:79], v[86:87]
	v_add_f64 v[106:107], v[82:83], v[90:91]
	v_fma_f64 v[2:3], v[2:3], -0.5, v[82:83]
	v_add_f64 v[102:103], v[102:103], -v[96:97]
	v_fma_f64 v[70:71], v[116:117], s[8:9], v[74:75]
	v_fma_f64 v[74:75], v[116:117], s[2:3], v[74:75]
	;; [unrolled: 1-line block ×4, first 2 shown]
	v_add_f64 v[80:81], v[100:101], v[96:97]
	v_fma_f64 v[92:93], v[104:105], s[2:3], v[0:1]
	v_fma_f64 v[96:97], v[104:105], s[8:9], v[0:1]
	v_mad_legacy_u16 v0, v8, 51, v9
	v_lshlrev_b32_sdwa v170, v16, v0 dst_sel:DWORD dst_unused:UNUSED_PAD src0_sel:DWORD src1_sel:BYTE_0
	v_mul_u32_u24_e32 v0, 51, v10
	v_add_f64 v[78:79], v[6:7], v[94:95]
	v_add_f64 v[82:83], v[106:107], v[98:99]
	v_fma_f64 v[98:99], v[102:103], s[2:3], v[2:3]
	v_add_lshl_u32 v171, v0, v11, 4
	v_mul_u32_u24_e32 v0, 51, v12
	v_fma_f64 v[94:95], v[102:103], s[8:9], v[2:3]
	v_add_lshl_u32 v172, v0, v13, 4
	v_mul_u32_u24_e32 v0, 51, v14
	v_add_lshl_u32 v173, v0, v15, 4
	v_mov_b32_e32 v0, s0
	v_mov_b32_e32 v1, s1
	ds_write_b128 v170, v[44:47]
	ds_write_b128 v170, v[68:71] offset:272
	ds_write_b128 v170, v[72:75] offset:544
	v_mad_u64_u32 v[72:73], s[0:1], v255, s10, v[0:1]
	ds_write_b128 v171, v[56:59]
	ds_write_b128 v171, v[48:51] offset:272
	ds_write_b128 v171, v[64:67] offset:544
	ds_write_b128 v172, v[76:79]
	ds_write_b128 v172, v[84:87] offset:272
	ds_write_b128 v172, v[88:91] offset:544
	;; [unrolled: 3-line block ×3, first 2 shown]
	s_waitcnt lgkmcnt(0)
	; wave barrier
	s_waitcnt lgkmcnt(0)
	global_load_dwordx4 v[68:71], v[72:73], off offset:544
	global_load_dwordx4 v[64:67], v[72:73], off offset:560
	;; [unrolled: 1-line block ×5, first 2 shown]
	ds_read_b128 v[74:77], v245
	ds_read_b128 v[78:81], v245 offset:816
	ds_read_b128 v[82:85], v245 offset:1632
	;; [unrolled: 1-line block ×11, first 2 shown]
	s_waitcnt lgkmcnt(0)
	; wave barrier
	s_waitcnt lgkmcnt(0)
	s_movk_i32 s10, 0x2000
	s_waitcnt vmcnt(4)
	v_mul_f64 v[0:1], v[84:85], v[70:71]
	v_mul_f64 v[2:3], v[82:83], v[70:71]
	s_waitcnt vmcnt(3)
	v_mul_f64 v[4:5], v[92:93], v[66:67]
	s_waitcnt vmcnt(2)
	v_mul_f64 v[122:123], v[100:101], v[58:59]
	v_mul_f64 v[124:125], v[98:99], v[58:59]
	s_waitcnt vmcnt(1)
	v_mul_f64 v[126:127], v[108:109], v[50:51]
	s_waitcnt vmcnt(0)
	v_mul_f64 v[130:131], v[116:117], v[46:47]
	v_mul_f64 v[132:133], v[114:115], v[46:47]
	;; [unrolled: 1-line block ×7, first 2 shown]
	v_fma_f64 v[0:1], v[82:83], v[68:69], -v[0:1]
	v_fma_f64 v[2:3], v[84:85], v[68:69], v[2:3]
	v_fma_f64 v[4:5], v[90:91], v[64:65], -v[4:5]
	v_fma_f64 v[82:83], v[98:99], v[56:57], -v[122:123]
	v_fma_f64 v[84:85], v[100:101], v[56:57], v[124:125]
	v_fma_f64 v[90:91], v[106:107], v[48:49], -v[126:127]
	v_fma_f64 v[98:99], v[114:115], v[44:45], -v[130:131]
	v_fma_f64 v[100:101], v[116:117], v[44:45], v[132:133]
	v_mul_f64 v[140:141], v[94:95], v[66:67]
	v_fma_f64 v[6:7], v[92:93], v[64:65], v[6:7]
	v_fma_f64 v[92:93], v[108:109], v[48:49], v[128:129]
	v_fma_f64 v[106:107], v[86:87], v[68:69], -v[134:135]
	v_fma_f64 v[108:109], v[88:89], v[68:69], v[136:137]
	v_fma_f64 v[114:115], v[94:95], v[64:65], -v[138:139]
	v_add_f64 v[86:87], v[4:5], v[90:91]
	v_add_f64 v[88:89], v[82:83], v[98:99]
	;; [unrolled: 1-line block ×3, first 2 shown]
	v_mul_f64 v[150:151], v[120:121], v[46:47]
	v_add_f64 v[116:117], v[74:75], v[4:5]
	v_add_f64 v[122:123], v[82:83], -v[98:99]
	v_add_f64 v[124:125], v[84:85], -v[100:101]
	v_mul_f64 v[144:145], v[102:103], v[58:59]
	v_fma_f64 v[74:75], v[86:87], -0.5, v[74:75]
	v_add_f64 v[86:87], v[6:7], -v[92:93]
	v_fma_f64 v[88:89], v[88:89], -0.5, v[0:1]
	v_fma_f64 v[94:95], v[94:95], -0.5, v[2:3]
	v_mul_f64 v[146:147], v[112:113], v[50:51]
	v_fma_f64 v[126:127], v[118:119], v[44:45], -v[150:151]
	v_mul_f64 v[118:119], v[118:119], v[46:47]
	v_add_f64 v[128:129], v[6:7], v[92:93]
	v_add_f64 v[6:7], v[76:77], v[6:7]
	v_fma_f64 v[130:131], v[86:87], s[2:3], v[74:75]
	v_fma_f64 v[132:133], v[86:87], s[8:9], v[74:75]
	;; [unrolled: 1-line block ×5, first 2 shown]
	v_mul_f64 v[142:143], v[104:105], v[58:59]
	v_mul_f64 v[148:149], v[110:111], v[50:51]
	v_fma_f64 v[104:105], v[104:105], v[56:57], v[144:145]
	v_fma_f64 v[110:111], v[110:111], v[48:49], -v[146:147]
	v_add_f64 v[116:117], v[116:117], v[90:91]
	v_fma_f64 v[88:89], v[124:125], s[2:3], v[88:89]
	v_add_f64 v[4:5], v[4:5], -v[90:91]
	v_add_f64 v[0:1], v[0:1], v[82:83]
	v_mul_f64 v[82:83], v[74:75], s[2:3]
	v_mul_f64 v[90:91], v[86:87], -0.5
	v_add_f64 v[6:7], v[6:7], v[92:93]
	v_mul_f64 v[92:93], v[94:95], -0.5
	v_fma_f64 v[118:119], v[120:121], v[44:45], v[118:119]
	v_fma_f64 v[102:103], v[102:103], v[56:57], -v[142:143]
	v_fma_f64 v[96:97], v[96:97], v[64:65], v[140:141]
	v_fma_f64 v[112:113], v[112:113], v[48:49], v[148:149]
	v_fma_f64 v[76:77], v[128:129], -0.5, v[76:77]
	v_add_f64 v[2:3], v[2:3], v[84:85]
	v_mul_f64 v[84:85], v[88:89], s[8:9]
	v_add_f64 v[0:1], v[0:1], v[98:99]
	v_fma_f64 v[98:99], v[88:89], 0.5, v[82:83]
	v_fma_f64 v[124:125], v[94:95], s[2:3], v[90:91]
	v_fma_f64 v[128:129], v[86:87], s[8:9], v[92:93]
	v_add_f64 v[92:93], v[114:115], v[110:111]
	v_add_f64 v[134:135], v[104:105], v[118:119]
	;; [unrolled: 1-line block ×4, first 2 shown]
	v_fma_f64 v[100:101], v[74:75], 0.5, v[84:85]
	v_add_f64 v[74:75], v[116:117], v[0:1]
	v_add_f64 v[82:83], v[130:131], v[98:99]
	;; [unrolled: 1-line block ×3, first 2 shown]
	v_add_f64 v[90:91], v[116:117], -v[0:1]
	v_add_f64 v[94:95], v[130:131], -v[98:99]
	;; [unrolled: 1-line block ×3, first 2 shown]
	v_add_f64 v[0:1], v[78:79], v[114:115]
	v_fma_f64 v[78:79], v[92:93], -0.5, v[78:79]
	v_add_f64 v[116:117], v[96:97], -v[112:113]
	v_fma_f64 v[124:125], v[134:135], -0.5, v[108:109]
	v_add_f64 v[130:131], v[102:103], -v[126:127]
	;; [unrolled: 2-line block ×3, first 2 shown]
	v_add_f64 v[134:135], v[96:97], v[112:113]
	v_fma_f64 v[122:123], v[4:5], s[8:9], v[76:77]
	v_fma_f64 v[4:5], v[4:5], s[2:3], v[76:77]
	v_add_f64 v[76:77], v[6:7], v[2:3]
	v_add_f64 v[92:93], v[6:7], -v[2:3]
	v_fma_f64 v[2:3], v[116:117], s[2:3], v[78:79]
	v_fma_f64 v[116:117], v[116:117], s[8:9], v[78:79]
	v_fma_f64 v[78:79], v[130:131], s[8:9], v[124:125]
	v_add_f64 v[6:7], v[80:81], v[96:97]
	v_fma_f64 v[96:97], v[132:133], s[8:9], v[120:121]
	v_fma_f64 v[120:121], v[132:133], s[2:3], v[120:121]
	;; [unrolled: 1-line block ×3, first 2 shown]
	v_add_f64 v[0:1], v[0:1], v[110:111]
	v_fma_f64 v[80:81], v[134:135], -0.5, v[80:81]
	v_add_f64 v[110:111], v[114:115], -v[110:111]
	v_add_f64 v[102:103], v[106:107], v[102:103]
	v_mul_f64 v[106:107], v[78:79], s[2:3]
	v_add_f64 v[6:7], v[6:7], v[112:113]
	v_mul_f64 v[112:113], v[96:97], -0.5
	v_add_f64 v[104:105], v[108:109], v[104:105]
	v_mul_f64 v[108:109], v[120:121], s[8:9]
	v_mul_f64 v[114:115], v[124:125], -0.5
	v_fma_f64 v[130:131], v[110:111], s[8:9], v[80:81]
	v_fma_f64 v[132:133], v[110:111], s[2:3], v[80:81]
	v_add_f64 v[110:111], v[102:103], v[126:127]
	v_fma_f64 v[120:121], v[120:121], 0.5, v[106:107]
	v_fma_f64 v[112:113], v[124:125], s[2:3], v[112:113]
	v_add_f64 v[124:125], v[104:105], v[118:119]
	v_fma_f64 v[126:127], v[78:79], 0.5, v[108:109]
	v_fma_f64 v[134:135], v[96:97], s[8:9], v[114:115]
	v_add_f64 v[84:85], v[122:123], v[100:101]
	v_add_f64 v[88:89], v[4:5], v[128:129]
	;; [unrolled: 1-line block ×3, first 2 shown]
	v_add_f64 v[110:111], v[0:1], -v[110:111]
	v_lshlrev_b32_e32 v0, 6, v255
	v_add_f64 v[96:97], v[122:123], -v[100:101]
	v_add_f64 v[102:103], v[2:3], v[120:121]
	v_add_f64 v[114:115], v[2:3], -v[120:121]
	v_sub_co_u32_e64 v2, s[0:1], v72, v0
	v_add_f64 v[100:101], v[4:5], -v[128:129]
	v_subbrev_co_u32_e64 v3, s[0:1], 0, v73, s[0:1]
	v_add_f64 v[80:81], v[6:7], v[124:125]
	v_add_co_u32_e64 v0, s[0:1], s11, v2
	v_add_f64 v[104:105], v[130:131], v[126:127]
	v_addc_co_u32_e64 v1, s[0:1], 0, v3, s[0:1]
	v_add_f64 v[106:107], v[116:117], v[112:113]
	v_add_f64 v[108:109], v[132:133], v[134:135]
	v_add_f64 v[118:119], v[116:117], -v[112:113]
	v_add_f64 v[112:113], v[6:7], -v[124:125]
	;; [unrolled: 1-line block ×4, first 2 shown]
	ds_write_b128 v245, v[74:77]
	ds_write_b128 v245, v[82:85] offset:816
	ds_write_b128 v245, v[86:89] offset:1632
	;; [unrolled: 1-line block ×11, first 2 shown]
	s_waitcnt lgkmcnt(0)
	; wave barrier
	s_waitcnt lgkmcnt(0)
	global_load_dwordx4 v[72:75], v[0:1], off offset:528
	global_load_dwordx4 v[76:79], v[0:1], off offset:1344
	;; [unrolled: 1-line block ×5, first 2 shown]
	v_add_co_u32_e64 v0, s[0:1], s10, v2
	v_addc_co_u32_e64 v1, s[0:1], 0, v3, s[0:1]
	global_load_dwordx4 v[92:95], v[0:1], off offset:512
	ds_read_b128 v[96:99], v245
	ds_read_b128 v[108:111], v245 offset:816
	ds_read_b128 v[100:103], v245 offset:4896
	;; [unrolled: 1-line block ×11, first 2 shown]
	s_waitcnt vmcnt(5) lgkmcnt(9)
	v_mul_f64 v[0:1], v[102:103], v[74:75]
	v_mul_f64 v[2:3], v[100:101], v[74:75]
	s_waitcnt vmcnt(4) lgkmcnt(8)
	v_mul_f64 v[4:5], v[106:107], v[78:79]
	v_mul_f64 v[6:7], v[104:105], v[78:79]
	;; [unrolled: 3-line block ×4, first 2 shown]
	v_fma_f64 v[0:1], v[100:101], v[72:73], -v[0:1]
	v_fma_f64 v[2:3], v[102:103], v[72:73], v[2:3]
	v_fma_f64 v[4:5], v[104:105], v[76:77], -v[4:5]
	v_fma_f64 v[6:7], v[106:107], v[76:77], v[6:7]
	;; [unrolled: 2-line block ×4, first 2 shown]
	s_waitcnt vmcnt(1) lgkmcnt(1)
	v_mul_f64 v[144:145], v[122:123], v[82:83]
	v_mul_f64 v[146:147], v[120:121], v[82:83]
	s_waitcnt vmcnt(0) lgkmcnt(0)
	v_mul_f64 v[148:149], v[138:139], v[94:95]
	v_mul_f64 v[150:151], v[136:137], v[94:95]
	v_add_f64 v[100:101], v[96:97], -v[0:1]
	v_add_f64 v[102:103], v[98:99], -v[2:3]
	;; [unrolled: 1-line block ×4, first 2 shown]
	v_fma_f64 v[0:1], v[120:121], v[80:81], -v[144:145]
	v_fma_f64 v[2:3], v[122:123], v[80:81], v[146:147]
	v_fma_f64 v[4:5], v[136:137], v[92:93], -v[148:149]
	v_fma_f64 v[6:7], v[138:139], v[92:93], v[150:151]
	v_add_f64 v[112:113], v[124:125], -v[112:113]
	v_add_f64 v[114:115], v[126:127], -v[114:115]
	;; [unrolled: 1-line block ×8, first 2 shown]
	v_fma_f64 v[96:97], v[96:97], 2.0, -v[100:101]
	v_fma_f64 v[98:99], v[98:99], 2.0, -v[102:103]
	;; [unrolled: 1-line block ×12, first 2 shown]
	ds_write_b128 v245, v[96:99]
	ds_write_b128 v245, v[100:103] offset:4896
	ds_write_b128 v245, v[108:111] offset:816
	;; [unrolled: 1-line block ×11, first 2 shown]
	s_waitcnt lgkmcnt(0)
	; wave barrier
	s_waitcnt lgkmcnt(0)
	s_and_saveexec_b64 s[2:3], vcc
	s_cbranch_execz .LBB0_9
; %bb.8:
	s_add_u32 s8, s12, 0x2640
	s_addc_u32 s9, s13, 0
	global_load_dwordx4 v[150:153], v180, s[8:9]
	ds_read_b128 v[146:149], v245
	v_add_co_u32_e64 v145, s[0:1], s8, v180
	v_mov_b32_e32 v0, s9
	v_addc_co_u32_e64 v144, s[0:1], 0, v0, s[0:1]
	s_waitcnt vmcnt(0) lgkmcnt(0)
	v_mul_f64 v[0:1], v[148:149], v[152:153]
	v_fma_f64 v[154:155], v[146:147], v[150:151], -v[0:1]
	v_mul_f64 v[0:1], v[146:147], v[152:153]
	v_fma_f64 v[156:157], v[148:149], v[150:151], v[0:1]
	global_load_dwordx4 v[150:153], v180, s[8:9] offset:576
	ds_write_b128 v245, v[154:157]
	ds_read_b128 v[146:149], v246 offset:576
	s_waitcnt vmcnt(0) lgkmcnt(0)
	v_mul_f64 v[0:1], v[148:149], v[152:153]
	v_fma_f64 v[154:155], v[146:147], v[150:151], -v[0:1]
	v_mul_f64 v[0:1], v[146:147], v[152:153]
	v_fma_f64 v[156:157], v[148:149], v[150:151], v[0:1]
	global_load_dwordx4 v[150:153], v180, s[8:9] offset:1152
	ds_read_b128 v[146:149], v246 offset:1152
	ds_write_b128 v246, v[154:157] offset:576
	s_waitcnt vmcnt(0) lgkmcnt(1)
	v_mul_f64 v[0:1], v[148:149], v[152:153]
	v_fma_f64 v[154:155], v[146:147], v[150:151], -v[0:1]
	v_mul_f64 v[0:1], v[146:147], v[152:153]
	v_fma_f64 v[156:157], v[148:149], v[150:151], v[0:1]
	global_load_dwordx4 v[150:153], v180, s[8:9] offset:1728
	ds_read_b128 v[146:149], v246 offset:1728
	ds_write_b128 v246, v[154:157] offset:1152
	;; [unrolled: 8-line block ×6, first 2 shown]
	s_waitcnt vmcnt(0) lgkmcnt(1)
	v_mul_f64 v[0:1], v[148:149], v[152:153]
	v_fma_f64 v[154:155], v[146:147], v[150:151], -v[0:1]
	v_mul_f64 v[0:1], v[146:147], v[152:153]
	v_fma_f64 v[156:157], v[148:149], v[150:151], v[0:1]
	v_add_co_u32_e64 v0, s[0:1], s11, v145
	v_addc_co_u32_e64 v1, s[0:1], 0, v144, s[0:1]
	global_load_dwordx4 v[150:153], v[0:1], off offset:512
	ds_read_b128 v[146:149], v246 offset:4608
	ds_write_b128 v246, v[154:157] offset:4032
	s_waitcnt vmcnt(0) lgkmcnt(1)
	v_mul_f64 v[2:3], v[148:149], v[152:153]
	v_fma_f64 v[154:155], v[146:147], v[150:151], -v[2:3]
	v_mul_f64 v[2:3], v[146:147], v[152:153]
	v_fma_f64 v[156:157], v[148:149], v[150:151], v[2:3]
	global_load_dwordx4 v[150:153], v[0:1], off offset:1088
	ds_read_b128 v[146:149], v246 offset:5184
	ds_write_b128 v246, v[154:157] offset:4608
	s_waitcnt vmcnt(0) lgkmcnt(1)
	v_mul_f64 v[2:3], v[148:149], v[152:153]
	v_fma_f64 v[154:155], v[146:147], v[150:151], -v[2:3]
	v_mul_f64 v[2:3], v[146:147], v[152:153]
	v_fma_f64 v[156:157], v[148:149], v[150:151], v[2:3]
	;; [unrolled: 8-line block ×7, first 2 shown]
	v_add_co_u32_e64 v0, s[0:1], s10, v145
	v_addc_co_u32_e64 v1, s[0:1], 0, v144, s[0:1]
	global_load_dwordx4 v[150:153], v[0:1], off offset:448
	ds_read_b128 v[146:149], v246 offset:8640
	ds_write_b128 v246, v[154:157] offset:8064
	s_waitcnt vmcnt(0) lgkmcnt(1)
	v_mul_f64 v[0:1], v[148:149], v[152:153]
	v_fma_f64 v[144:145], v[146:147], v[150:151], -v[0:1]
	v_mul_f64 v[0:1], v[146:147], v[152:153]
	v_fma_f64 v[146:147], v[148:149], v[150:151], v[0:1]
	v_or_b32_e32 v0, 0x2400, v180
	global_load_dwordx4 v[148:151], v0, s[8:9]
	ds_write_b128 v246, v[144:147] offset:8640
	ds_read_b128 v[144:147], v246 offset:9216
	s_waitcnt vmcnt(0) lgkmcnt(0)
	v_mul_f64 v[0:1], v[146:147], v[150:151]
	v_fma_f64 v[152:153], v[144:145], v[148:149], -v[0:1]
	v_mul_f64 v[0:1], v[144:145], v[150:151]
	v_fma_f64 v[154:155], v[146:147], v[148:149], v[0:1]
	ds_write_b128 v246, v[152:155] offset:9216
.LBB0_9:
	s_or_b64 exec, exec, s[2:3]
	s_waitcnt lgkmcnt(0)
	; wave barrier
	s_waitcnt lgkmcnt(0)
	s_and_saveexec_b64 s[0:1], vcc
	s_cbranch_execz .LBB0_11
; %bb.10:
	ds_read_b128 v[96:99], v245
	ds_read_b128 v[100:103], v245 offset:576
	ds_read_b128 v[108:111], v245 offset:1152
	;; [unrolled: 1-line block ×12, first 2 shown]
	s_waitcnt lgkmcnt(0)
	buffer_store_dword v0, off, s[60:63], 0 offset:16 ; 4-byte Folded Spill
	s_nop 0
	buffer_store_dword v1, off, s[60:63], 0 offset:20 ; 4-byte Folded Spill
	buffer_store_dword v2, off, s[60:63], 0 offset:24 ; 4-byte Folded Spill
	;; [unrolled: 1-line block ×3, first 2 shown]
	ds_read_b128 v[0:3], v245 offset:7488
	s_waitcnt lgkmcnt(0)
	buffer_store_dword v0, off, s[60:63], 0 ; 4-byte Folded Spill
	s_nop 0
	buffer_store_dword v1, off, s[60:63], 0 offset:4 ; 4-byte Folded Spill
	buffer_store_dword v2, off, s[60:63], 0 offset:8 ; 4-byte Folded Spill
	buffer_store_dword v3, off, s[60:63], 0 offset:12 ; 4-byte Folded Spill
	ds_read_b128 v[231:234], v245 offset:8064
	ds_read_b128 v[222:225], v245 offset:8640
	;; [unrolled: 1-line block ×3, first 2 shown]
.LBB0_11:
	s_or_b64 exec, exec, s[0:1]
	s_waitcnt lgkmcnt(0)
	; wave barrier
	s_waitcnt lgkmcnt(0)
	s_and_saveexec_b64 s[0:1], vcc
	s_cbranch_execz .LBB0_13
; %bb.12:
	buffer_store_dword v40, off, s[60:63], 0 offset:88 ; 4-byte Folded Spill
	s_nop 0
	buffer_store_dword v41, off, s[60:63], 0 offset:92 ; 4-byte Folded Spill
	buffer_store_dword v42, off, s[60:63], 0 offset:96 ; 4-byte Folded Spill
	;; [unrolled: 1-line block ×3, first 2 shown]
	buffer_load_dword v40, off, s[60:63], 0 offset:16 ; 4-byte Folded Reload
	s_nop 0
	buffer_load_dword v41, off, s[60:63], 0 offset:20 ; 4-byte Folded Reload
	buffer_load_dword v42, off, s[60:63], 0 offset:24 ; 4-byte Folded Reload
	;; [unrolled: 1-line block ×3, first 2 shown]
	s_nop 0
	buffer_store_dword v36, off, s[60:63], 0 offset:56 ; 4-byte Folded Spill
	s_nop 0
	buffer_store_dword v37, off, s[60:63], 0 offset:60 ; 4-byte Folded Spill
	buffer_store_dword v38, off, s[60:63], 0 offset:64 ; 4-byte Folded Spill
	;; [unrolled: 1-line block ×3, first 2 shown]
	buffer_load_dword v36, off, s[60:63], 0 ; 4-byte Folded Reload
	s_nop 0
	buffer_load_dword v37, off, s[60:63], 0 offset:4 ; 4-byte Folded Reload
	buffer_load_dword v38, off, s[60:63], 0 offset:8 ; 4-byte Folded Reload
	;; [unrolled: 1-line block ×3, first 2 shown]
	v_add_f64 v[2:3], v[132:133], -v[120:121]
	v_add_f64 v[22:23], v[100:101], -v[218:219]
	s_mov_b32 s50, 0xeb564b22
	s_mov_b32 s16, 0xacd6c6b4
	;; [unrolled: 1-line block ×4, first 2 shown]
	v_add_f64 v[185:186], v[108:109], -v[222:223]
	v_add_f64 v[199:200], v[102:103], v[220:221]
	v_mov_b32_e32 v25, v3
	v_mul_f64 v[0:1], v[2:3], s[50:51]
	v_mov_b32_e32 v24, v2
	v_mul_f64 v[2:3], v[22:23], s[16:17]
	s_mov_b32 s38, 0x5d8e7cdc
	s_mov_b32 s2, 0x7faef3
	s_mov_b32 s39, 0x3fd71e95
	v_mov_b32_e32 v17, v7
	s_mov_b32 s3, 0xbfef7484
	v_mov_b32_e32 v16, v6
	v_mov_b32_e32 v15, v5
	v_mov_b32_e32 v14, v4
	v_add_f64 v[195:196], v[110:111], v[224:225]
	v_fma_f64 v[6:7], v[199:200], s[2:3], v[2:3]
	v_add_f64 v[20:21], v[104:105], -v[231:232]
	s_mov_b32 s18, 0x370991
	s_mov_b32 s19, 0x3fedd6d0
	;; [unrolled: 1-line block ×6, first 2 shown]
	v_add_f64 v[6:7], v[98:99], v[6:7]
	v_mov_b32_e32 v63, v21
	v_mul_f64 v[144:145], v[20:21], s[22:23]
	v_mov_b32_e32 v62, v20
	s_mov_b32 s47, 0x3fe58eea
	s_mov_b32 s25, 0xbfe9895b
	v_add_f64 v[211:212], v[100:101], v[218:219]
	buffer_store_dword v158, off, s[60:63], 0 offset:72 ; 4-byte Folded Spill
	s_nop 0
	buffer_store_dword v159, off, s[60:63], 0 offset:76 ; 4-byte Folded Spill
	buffer_store_dword v160, off, s[60:63], 0 offset:80 ; 4-byte Folded Spill
	;; [unrolled: 1-line block ×3, first 2 shown]
	v_add_f64 v[209:210], v[108:109], v[222:223]
	v_add_f64 v[197:198], v[106:107], v[233:234]
	s_mov_b32 s8, 0x910ea3b9
	s_mov_b32 s9, 0xbfeb34fa
	;; [unrolled: 1-line block ×4, first 2 shown]
	v_add_f64 v[124:125], v[8:9], -v[136:137]
	s_mov_b32 s42, 0x7c9e640b
	s_mov_b32 s10, 0x6ed5f1bb
	v_fma_f64 v[150:151], v[197:198], s[8:9], v[144:145]
	s_mov_b32 s43, 0x3feca52d
	s_mov_b32 s11, 0xbfe348c8
	v_add_f64 v[189:190], v[10:11], v[138:139]
	s_mov_b32 s34, 0x2b2883cd
	s_mov_b32 s35, 0x3fdc86fa
	v_fma_f64 v[2:3], v[199:200], s[2:3], -v[2:3]
	v_fma_f64 v[144:145], v[197:198], s[8:9], -v[144:145]
	v_add_f64 v[30:31], v[116:117], -v[140:141]
	v_add_f64 v[229:230], v[8:9], v[136:137]
	s_mov_b32 s26, 0x923c349f
	s_mov_b32 s27, 0xbfeec746
	v_add_f64 v[187:188], v[118:119], v[142:143]
	v_add_f64 v[130:131], v[134:135], -v[122:123]
	v_add_f64 v[2:3], v[98:99], v[2:3]
	v_add_f64 v[227:228], v[116:117], v[140:141]
	s_mov_b32 s28, 0xc61f0d01
	s_mov_b32 s29, 0xbfd183b1
	v_add_f64 v[181:182], v[134:135], v[122:123]
	s_mov_b32 s30, 0x3259b75e
	s_mov_b32 s31, 0x3fb79ee6
	;; [unrolled: 1-line block ×12, first 2 shown]
	s_waitcnt vmcnt(14)
	v_add_f64 v[12:13], v[112:113], -v[40:41]
	s_waitcnt vmcnt(12)
	v_add_f64 v[191:192], v[114:115], v[42:43]
	s_waitcnt vmcnt(6)
	v_add_f64 v[18:19], v[4:5], -v[36:37]
	v_mul_f64 v[4:5], v[185:186], s[38:39]
	s_waitcnt vmcnt(4)
	v_add_f64 v[193:194], v[16:17], v[38:39]
	v_add_f64 v[207:208], v[114:115], -v[42:43]
	s_mov_b32 s57, 0x3fe0d888
	s_mov_b32 s56, s22
	v_mov_b32_e32 v21, v13
	v_mov_b32_e32 v20, v12
	;; [unrolled: 1-line block ×3, first 2 shown]
	v_fma_f64 v[146:147], v[195:196], s[18:19], v[4:5]
	v_mul_f64 v[148:149], v[18:19], s[46:47]
	v_mov_b32_e32 v60, v18
	v_add_f64 v[18:19], v[102:103], -v[220:221]
	buffer_store_dword v217, off, s[60:63], 0 offset:48 ; 4-byte Folded Spill
	s_nop 0
	buffer_store_dword v218, off, s[60:63], 0 offset:52 ; 4-byte Folded Spill
	buffer_store_dword v218, off, s[60:63], 0 offset:32 ; 4-byte Folded Spill
	s_nop 0
	buffer_store_dword v219, off, s[60:63], 0 offset:36 ; 4-byte Folded Spill
	buffer_store_dword v220, off, s[60:63], 0 offset:40 ; 4-byte Folded Spill
	;; [unrolled: 1-line block ×3, first 2 shown]
	v_add_f64 v[219:220], v[104:105], v[231:232]
	v_fma_f64 v[4:5], v[195:196], s[18:19], -v[4:5]
	v_add_f64 v[217:218], v[10:11], -v[138:139]
	v_add_f64 v[6:7], v[146:147], v[6:7]
	v_mul_f64 v[146:147], v[12:13], s[24:25]
	v_add_f64 v[12:13], v[110:111], -v[224:225]
	buffer_store_dword v222, off, s[60:63], 0 offset:168 ; 4-byte Folded Spill
	s_nop 0
	buffer_store_dword v223, off, s[60:63], 0 offset:172 ; 4-byte Folded Spill
	buffer_store_dword v224, off, s[60:63], 0 offset:176 ; 4-byte Folded Spill
	;; [unrolled: 1-line block ×4, first 2 shown]
	s_nop 0
	buffer_store_dword v15, off, s[60:63], 0 offset:220 ; 4-byte Folded Spill
	buffer_store_dword v16, off, s[60:63], 0 offset:224 ; 4-byte Folded Spill
	;; [unrolled: 1-line block ×3, first 2 shown]
	v_fma_f64 v[152:153], v[193:194], s[20:21], v[148:149]
	v_mov_b32_e32 v127, v19
	v_mov_b32_e32 v126, v18
	buffer_store_dword v162, off, s[60:63], 0 offset:104 ; 4-byte Folded Spill
	s_nop 0
	buffer_store_dword v163, off, s[60:63], 0 offset:108 ; 4-byte Folded Spill
	buffer_store_dword v164, off, s[60:63], 0 offset:112 ; 4-byte Folded Spill
	;; [unrolled: 1-line block ×3, first 2 shown]
	v_add_f64 v[6:7], v[150:151], v[6:7]
	v_mul_f64 v[150:151], v[124:125], s[42:43]
	v_fma_f64 v[154:155], v[191:192], s[10:11], v[146:147]
	v_add_f64 v[2:3], v[4:5], v[2:3]
	v_mov_b32_e32 v129, v13
	v_mov_b32_e32 v128, v12
	v_fma_f64 v[148:149], v[193:194], s[20:21], -v[148:149]
	v_fma_f64 v[146:147], v[191:192], s[10:11], -v[146:147]
	v_add_f64 v[6:7], v[152:153], v[6:7]
	v_fma_f64 v[156:157], v[189:190], s[34:35], v[150:151]
	v_mul_f64 v[152:153], v[30:31], s[26:27]
	v_add_f64 v[2:3], v[144:145], v[2:3]
	v_fma_f64 v[150:151], v[189:190], s[34:35], -v[150:151]
	v_add_f64 v[225:226], v[132:133], v[120:121]
	v_mul_f64 v[176:177], v[128:129], s[42:43]
	s_mov_b32 s49, 0xbfeca52d
	v_add_f64 v[6:7], v[154:155], v[6:7]
	v_mul_f64 v[154:155], v[18:19], s[16:17]
	v_add_f64 v[18:19], v[106:107], -v[233:234]
	buffer_store_dword v231, off, s[60:63], 0 offset:200 ; 4-byte Folded Spill
	s_nop 0
	buffer_store_dword v232, off, s[60:63], 0 offset:204 ; 4-byte Folded Spill
	buffer_store_dword v233, off, s[60:63], 0 offset:208 ; 4-byte Folded Spill
	;; [unrolled: 1-line block ×4, first 2 shown]
	s_nop 0
	buffer_store_dword v167, off, s[60:63], 0 offset:124 ; 4-byte Folded Spill
	buffer_store_dword v168, off, s[60:63], 0 offset:128 ; 4-byte Folded Spill
	;; [unrolled: 1-line block ×3, first 2 shown]
	v_add_f64 v[231:232], v[112:113], v[40:41]
	v_add_f64 v[2:3], v[148:149], v[2:3]
	v_fma_f64 v[158:159], v[187:188], s[28:29], v[152:153]
	v_add_f64 v[6:7], v[156:157], v[6:7]
	v_mul_f64 v[156:157], v[12:13], s[38:39]
	v_fma_f64 v[160:161], v[211:212], s[2:3], -v[154:155]
	v_mul_f64 v[162:163], v[18:19], s[22:23]
	v_fma_f64 v[154:155], v[211:212], s[2:3], v[154:155]
	v_add_f64 v[12:13], v[118:119], -v[142:143]
	v_add_f64 v[2:3], v[146:147], v[2:3]
	v_fma_f64 v[152:153], v[187:188], s[28:29], -v[152:153]
	v_add_f64 v[6:7], v[158:159], v[6:7]
	v_fma_f64 v[164:165], v[209:210], s[18:19], -v[156:157]
	;; [unrolled: 2-line block ×3, first 2 shown]
	v_fma_f64 v[4:5], v[209:210], s[18:19], v[156:157]
	v_add_f64 v[154:155], v[96:97], v[154:155]
	v_mul_f64 v[156:157], v[207:208], s[24:25]
	v_fma_f64 v[144:145], v[219:220], s[8:9], v[162:163]
	v_add_f64 v[2:3], v[150:151], v[2:3]
	v_mov_b32_e32 v202, v13
	v_add_f64 v[160:161], v[164:165], v[160:161]
	v_mov_b32_e32 v201, v12
	v_mov_b32_e32 v184, v19
	v_add_f64 v[4:5], v[4:5], v[154:155]
	v_mul_f64 v[154:155], v[217:218], s[42:43]
	v_fma_f64 v[162:163], v[231:232], s[10:11], -v[156:157]
	v_fma_f64 v[146:147], v[231:232], s[10:11], v[156:157]
	v_add_f64 v[2:3], v[152:153], v[2:3]
	v_add_f64 v[160:161], v[168:169], v[160:161]
	v_mul_f64 v[168:169], v[126:127], s[22:23]
	v_mov_b32_e32 v183, v18
	v_add_f64 v[4:5], v[144:145], v[4:5]
	v_mul_f64 v[144:145], v[12:13], s[26:27]
	v_fma_f64 v[150:151], v[229:230], s[34:35], v[154:155]
	v_fma_f64 v[251:252], v[209:210], s[34:35], -v[176:177]
	v_fma_f64 v[176:177], v[209:210], s[34:35], v[176:177]
	v_mul_f64 v[158:159], v[24:25], s[26:27]
	v_fma_f64 v[178:179], v[211:212], s[8:9], -v[168:169]
	v_fma_f64 v[168:169], v[211:212], s[8:9], v[168:169]
	s_mov_b32 s48, s42
	v_fma_f64 v[156:157], v[227:228], s[28:29], -v[144:145]
	v_fma_f64 v[152:153], v[227:228], s[28:29], v[144:145]
	v_mul_f64 v[203:204], v[130:131], s[46:47]
	v_mul_f64 v[221:222], v[30:31], s[40:41]
	;; [unrolled: 1-line block ×3, first 2 shown]
	v_add_f64 v[178:179], v[96:97], v[178:179]
	v_add_f64 v[168:169], v[96:97], v[168:169]
	;; [unrolled: 1-line block ×4, first 2 shown]
	v_add_f64 v[223:224], v[16:17], -v[38:39]
	v_add_f64 v[233:234], v[14:15], v[36:37]
	v_fma_f64 v[237:238], v[187:188], s[30:31], v[221:222]
	v_add_f64 v[178:179], v[251:252], v[178:179]
	v_add_f64 v[168:169], v[176:177], v[168:169]
	v_add_f64 v[102:103], v[102:103], v[110:111]
	v_add_f64 v[100:101], v[100:101], v[108:109]
	v_mul_f64 v[166:167], v[223:224], s[46:47]
	v_mul_f64 v[16:17], v[223:224], s[22:23]
	v_add_f64 v[102:103], v[102:103], v[106:107]
	v_add_f64 v[100:101], v[100:101], v[104:105]
	v_fma_f64 v[164:165], v[233:234], s[20:21], -v[166:167]
	v_fma_f64 v[148:149], v[233:234], s[20:21], v[166:167]
	v_mul_f64 v[166:167], v[60:61], s[54:55]
	v_add_f64 v[160:161], v[164:165], v[160:161]
	v_fma_f64 v[164:165], v[229:230], s[34:35], -v[154:155]
	v_add_f64 v[4:5], v[148:149], v[4:5]
	v_mul_f64 v[148:149], v[130:131], s[50:51]
	v_fma_f64 v[247:248], v[193:194], s[10:11], v[166:167]
	v_fma_f64 v[166:167], v[193:194], s[10:11], -v[166:167]
	v_add_f64 v[160:161], v[162:163], v[160:161]
	v_mul_f64 v[162:163], v[185:186], s[42:43]
	v_add_f64 v[4:5], v[146:147], v[4:5]
	v_fma_f64 v[146:147], v[181:182], s[30:31], v[0:1]
	v_fma_f64 v[154:155], v[225:226], s[30:31], -v[148:149]
	v_fma_f64 v[0:1], v[181:182], s[30:31], -v[0:1]
	v_add_f64 v[160:161], v[164:165], v[160:161]
	v_add_f64 v[4:5], v[150:151], v[4:5]
	;; [unrolled: 1-line block ×3, first 2 shown]
	v_mul_f64 v[6:7], v[30:31], s[46:47]
	v_mov_b32_e32 v151, v61
	v_mov_b32_e32 v150, v60
	v_add_f64 v[156:157], v[156:157], v[160:161]
	v_mul_f64 v[160:161], v[124:125], s[16:17]
	v_add_f64 v[12:13], v[154:155], v[156:157]
	v_mul_f64 v[156:157], v[20:21], s[36:37]
	v_fma_f64 v[154:155], v[189:190], s[2:3], v[160:161]
	buffer_store_dword v12, off, s[60:63], 0 offset:184 ; 4-byte Folded Spill
	s_nop 0
	buffer_store_dword v13, off, s[60:63], 0 offset:188 ; 4-byte Folded Spill
	buffer_store_dword v14, off, s[60:63], 0 offset:192 ; 4-byte Folded Spill
	;; [unrolled: 1-line block ×3, first 2 shown]
	v_add_f64 v[14:15], v[0:1], v[2:3]
	v_fma_f64 v[0:1], v[225:226], s[30:31], v[148:149]
	v_mul_f64 v[148:149], v[22:23], s[22:23]
	buffer_store_dword v170, off, s[60:63], 0 offset:136 ; 4-byte Folded Spill
	buffer_store_dword v171, off, s[60:63], 0 offset:144 ; 4-byte Folded Spill
	v_mul_f64 v[170:171], v[62:63], s[40:41]
	buffer_store_dword v172, off, s[60:63], 0 offset:152 ; 4-byte Folded Spill
	buffer_store_dword v173, off, s[60:63], 0 offset:160 ; 4-byte Folded Spill
	v_fma_f64 v[172:173], v[195:196], s[34:35], v[162:163]
	v_fma_f64 v[162:163], v[195:196], s[34:35], -v[162:163]
	v_fma_f64 v[174:175], v[191:192], s[18:19], v[156:157]
	v_fma_f64 v[156:157], v[191:192], s[18:19], -v[156:157]
	;; [unrolled: 2-line block ×4, first 2 shown]
	v_add_f64 v[2:3], v[152:153], v[4:5]
	v_fma_f64 v[152:153], v[187:188], s[20:21], v[6:7]
	v_fma_f64 v[4:5], v[181:182], s[28:29], v[158:159]
	v_fma_f64 v[160:161], v[189:190], s[2:3], -v[160:161]
	v_add_f64 v[164:165], v[98:99], v[164:165]
	v_add_f64 v[148:149], v[98:99], v[148:149]
	v_fma_f64 v[6:7], v[187:188], s[20:21], -v[6:7]
	v_add_f64 v[12:13], v[0:1], v[2:3]
	buffer_store_dword v12, off, s[60:63], 0 offset:232 ; 4-byte Folded Spill
	s_nop 0
	buffer_store_dword v13, off, s[60:63], 0 offset:236 ; 4-byte Folded Spill
	buffer_store_dword v14, off, s[60:63], 0 offset:240 ; 4-byte Folded Spill
	;; [unrolled: 1-line block ×3, first 2 shown]
	v_add_f64 v[164:165], v[172:173], v[164:165]
	v_mul_f64 v[172:173], v[183:184], s[40:41]
	v_add_f64 v[148:149], v[162:163], v[148:149]
	v_mul_f64 v[12:13], v[183:184], s[36:37]
	buffer_store_dword v8, off, s[60:63], 0 offset:296 ; 4-byte Folded Spill
	s_nop 0
	buffer_store_dword v9, off, s[60:63], 0 offset:300 ; 4-byte Folded Spill
	buffer_store_dword v10, off, s[60:63], 0 offset:304 ; 4-byte Folded Spill
	;; [unrolled: 1-line block ×3, first 2 shown]
	v_mul_f64 v[8:9], v[60:61], s[22:23]
	v_add_f64 v[164:165], v[249:250], v[164:165]
	v_mul_f64 v[249:250], v[223:224], s[54:55]
	v_fma_f64 v[253:254], v[219:220], s[30:31], -v[172:173]
	v_fma_f64 v[162:163], v[219:220], s[30:31], v[172:173]
	v_mul_f64 v[172:173], v[207:208], s[36:37]
	v_add_f64 v[148:149], v[170:171], v[148:149]
	v_add_f64 v[164:165], v[247:248], v[164:165]
	v_fma_f64 v[176:177], v[233:234], s[10:11], -v[249:250]
	v_add_f64 v[178:179], v[253:254], v[178:179]
	v_fma_f64 v[170:171], v[233:234], s[10:11], v[249:250]
	v_add_f64 v[162:163], v[162:163], v[168:169]
	v_mul_f64 v[168:169], v[217:218], s[16:17]
	v_add_f64 v[148:149], v[166:167], v[148:149]
	v_fma_f64 v[166:167], v[231:232], s[18:19], v[172:173]
	v_add_f64 v[164:165], v[174:175], v[164:165]
	v_fma_f64 v[174:175], v[231:232], s[18:19], -v[172:173]
	v_add_f64 v[176:177], v[176:177], v[178:179]
	v_mul_f64 v[249:250], v[128:129], s[52:53]
	v_add_f64 v[162:163], v[170:171], v[162:163]
	v_fma_f64 v[170:171], v[229:230], s[2:3], -v[168:169]
	v_add_f64 v[148:149], v[156:157], v[148:149]
	v_fma_f64 v[156:157], v[229:230], s[2:3], v[168:169]
	v_add_f64 v[154:155], v[154:155], v[164:165]
	v_mul_f64 v[164:165], v[201:202], s[46:47]
	v_add_f64 v[172:173], v[174:175], v[176:177]
	v_mul_f64 v[178:179], v[62:63], s[36:37]
	v_add_f64 v[162:163], v[166:167], v[162:163]
	v_fma_f64 v[14:15], v[209:210], s[28:29], -v[249:250]
	v_mul_f64 v[166:167], v[130:131], s[26:27]
	v_add_f64 v[160:161], v[160:161], v[148:149]
	v_add_f64 v[152:153], v[152:153], v[154:155]
	v_fma_f64 v[168:169], v[227:228], s[20:21], -v[164:165]
	v_add_f64 v[170:171], v[170:171], v[172:173]
	v_fma_f64 v[10:11], v[197:198], s[18:19], v[178:179]
	v_add_f64 v[156:157], v[156:157], v[162:163]
	v_mul_f64 v[162:163], v[22:23], s[24:25]
	v_fma_f64 v[178:179], v[197:198], s[18:19], -v[178:179]
	v_fma_f64 v[164:165], v[227:228], s[20:21], v[164:165]
	v_add_f64 v[146:147], v[4:5], v[152:153]
	v_fma_f64 v[0:1], v[225:226], s[28:29], -v[166:167]
	v_add_f64 v[2:3], v[168:169], v[170:171]
	v_mul_f64 v[168:169], v[126:127], s[24:25]
	v_mul_f64 v[170:171], v[185:186], s[52:53]
	v_fma_f64 v[174:175], v[199:200], s[10:11], v[162:163]
	v_fma_f64 v[162:163], v[199:200], s[10:11], -v[162:163]
	v_fma_f64 v[4:5], v[181:182], s[28:29], -v[158:159]
	v_fma_f64 v[158:159], v[225:226], s[28:29], v[166:167]
	v_mul_f64 v[166:167], v[20:21], s[50:51]
	v_add_f64 v[156:157], v[164:165], v[156:157]
	v_fma_f64 v[251:252], v[211:212], s[10:11], -v[168:169]
	v_fma_f64 v[253:254], v[195:196], s[28:29], v[170:171]
	v_add_f64 v[174:175], v[98:99], v[174:175]
	v_fma_f64 v[170:171], v[195:196], s[28:29], -v[170:171]
	v_add_f64 v[162:163], v[98:99], v[162:163]
	v_fma_f64 v[18:19], v[211:212], s[10:11], v[168:169]
	v_fma_f64 v[168:169], v[219:220], s[18:19], -v[12:13]
	v_fma_f64 v[12:13], v[219:220], s[18:19], v[12:13]
	v_add_f64 v[251:252], v[96:97], v[251:252]
	v_mul_f64 v[164:165], v[124:125], s[44:45]
	v_add_f64 v[174:175], v[253:254], v[174:175]
	v_fma_f64 v[253:254], v[193:194], s[8:9], v[8:9]
	v_add_f64 v[162:163], v[170:171], v[162:163]
	v_add_f64 v[18:19], v[96:97], v[18:19]
	v_mul_f64 v[170:171], v[207:208], s[50:51]
	v_fma_f64 v[8:9], v[193:194], s[8:9], -v[8:9]
	v_add_f64 v[14:15], v[14:15], v[251:252]
	v_fma_f64 v[247:248], v[191:192], s[30:31], v[166:167]
	v_add_f64 v[10:11], v[10:11], v[174:175]
	v_fma_f64 v[174:175], v[209:210], s[28:29], v[249:250]
	v_fma_f64 v[249:250], v[233:234], s[8:9], -v[16:17]
	v_add_f64 v[162:163], v[178:179], v[162:163]
	v_fma_f64 v[166:167], v[191:192], s[30:31], -v[166:167]
	v_fma_f64 v[16:17], v[233:234], s[8:9], v[16:17]
	v_add_f64 v[14:15], v[168:169], v[14:15]
	v_mul_f64 v[168:169], v[217:218], s[44:45]
	v_add_f64 v[10:11], v[253:254], v[10:11]
	v_add_f64 v[18:19], v[174:175], v[18:19]
	v_fma_f64 v[174:175], v[231:232], s[30:31], -v[170:171]
	v_add_f64 v[8:9], v[8:9], v[162:163]
	v_add_f64 v[6:7], v[6:7], v[160:161]
	v_mul_f64 v[160:161], v[30:31], s[16:17]
	v_add_f64 v[14:15], v[249:250], v[14:15]
	v_fma_f64 v[176:177], v[189:190], s[20:21], v[164:165]
	v_add_f64 v[10:11], v[247:248], v[10:11]
	v_add_f64 v[12:13], v[12:13], v[18:19]
	v_mul_f64 v[178:179], v[201:202], s[16:17]
	v_fma_f64 v[18:19], v[229:230], s[20:21], -v[168:169]
	v_fma_f64 v[162:163], v[189:190], s[20:21], -v[164:165]
	v_add_f64 v[8:9], v[166:167], v[8:9]
	v_add_f64 v[14:15], v[174:175], v[14:15]
	v_fma_f64 v[166:167], v[231:232], s[30:31], v[170:171]
	v_mul_f64 v[152:153], v[24:25], s[42:43]
	v_add_f64 v[12:13], v[16:17], v[12:13]
	v_fma_f64 v[172:173], v[187:188], s[2:3], v[160:161]
	v_add_f64 v[10:11], v[176:177], v[10:11]
	v_mul_f64 v[164:165], v[130:131], s[42:43]
	v_fma_f64 v[16:17], v[227:228], s[2:3], -v[178:179]
	v_add_f64 v[14:15], v[18:19], v[14:15]
	v_fma_f64 v[18:19], v[187:188], s[2:3], -v[160:161]
	v_add_f64 v[8:9], v[162:163], v[8:9]
	v_fma_f64 v[160:161], v[229:230], s[20:21], v[168:169]
	v_add_f64 v[12:13], v[166:167], v[12:13]
	v_add_f64 v[144:145], v[0:1], v[2:3]
	;; [unrolled: 1-line block ×4, first 2 shown]
	v_fma_f64 v[170:171], v[181:182], s[34:35], v[152:153]
	v_add_f64 v[10:11], v[172:173], v[10:11]
	v_fma_f64 v[166:167], v[225:226], s[34:35], -v[164:165]
	v_add_f64 v[14:15], v[16:17], v[14:15]
	v_fma_f64 v[16:17], v[181:182], s[34:35], -v[152:153]
	v_add_f64 v[8:9], v[18:19], v[8:9]
	buffer_store_dword v144, off, s[60:63], 0 offset:248 ; 4-byte Folded Spill
	s_nop 0
	buffer_store_dword v145, off, s[60:63], 0 offset:252 ; 4-byte Folded Spill
	buffer_store_dword v146, off, s[60:63], 0 offset:256 ; 4-byte Folded Spill
	;; [unrolled: 1-line block ×3, first 2 shown]
	v_add_f64 v[2:3], v[160:161], v[12:13]
	buffer_store_dword v4, off, s[60:63], 0 offset:280 ; 4-byte Folded Spill
	s_nop 0
	buffer_store_dword v5, off, s[60:63], 0 offset:284 ; 4-byte Folded Spill
	buffer_store_dword v6, off, s[60:63], 0 offset:288 ; 4-byte Folded Spill
	;; [unrolled: 1-line block ×3, first 2 shown]
	v_mov_b32_e32 v161, v127
	v_add_f64 v[6:7], v[170:171], v[10:11]
	v_add_f64 v[4:5], v[166:167], v[14:15]
	v_mov_b32_e32 v160, v126
	v_add_f64 v[166:167], v[16:17], v[8:9]
	v_mul_f64 v[8:9], v[22:23], s[26:27]
	v_mul_f64 v[10:11], v[160:161], s[26:27]
	v_mov_b32_e32 v157, v129
	buffer_store_dword v4, off, s[60:63], 0 offset:264 ; 4-byte Folded Spill
	s_nop 0
	buffer_store_dword v5, off, s[60:63], 0 offset:268 ; 4-byte Folded Spill
	buffer_store_dword v6, off, s[60:63], 0 offset:272 ; 4-byte Folded Spill
	;; [unrolled: 1-line block ×3, first 2 shown]
	v_mov_b32_e32 v156, v128
	v_fma_f64 v[4:5], v[225:226], s[34:35], v[164:165]
	v_mul_f64 v[12:13], v[185:186], s[56:57]
	v_fma_f64 v[16:17], v[199:200], s[28:29], v[8:9]
	v_mul_f64 v[18:19], v[156:157], s[56:57]
	v_fma_f64 v[164:165], v[211:212], s[28:29], -v[10:11]
	v_fma_f64 v[8:9], v[199:200], s[28:29], -v[8:9]
	v_mov_b32_e32 v153, v63
	v_mov_b32_e32 v152, v62
	v_mul_f64 v[168:169], v[152:153], s[46:47]
	v_fma_f64 v[170:171], v[195:196], s[8:9], v[12:13]
	v_add_f64 v[16:17], v[98:99], v[16:17]
	v_mul_f64 v[172:173], v[183:184], s[46:47]
	v_fma_f64 v[174:175], v[209:210], s[8:9], -v[18:19]
	v_add_f64 v[164:165], v[96:97], v[164:165]
	v_fma_f64 v[12:13], v[195:196], s[8:9], -v[12:13]
	v_add_f64 v[8:9], v[98:99], v[8:9]
	v_fma_f64 v[0:1], v[227:228], s[2:3], v[178:179]
	v_mul_f64 v[176:177], v[150:151], s[48:49]
	v_fma_f64 v[178:179], v[197:198], s[20:21], v[168:169]
	v_add_f64 v[16:17], v[170:171], v[16:17]
	v_mul_f64 v[170:171], v[223:224], s[48:49]
	v_fma_f64 v[247:248], v[219:220], s[20:21], -v[172:173]
	v_add_f64 v[164:165], v[174:175], v[164:165]
	v_fma_f64 v[168:169], v[197:198], s[20:21], -v[168:169]
	v_add_f64 v[8:9], v[12:13], v[8:9]
	v_mul_f64 v[174:175], v[20:21], s[16:17]
	v_fma_f64 v[249:250], v[193:194], s[34:35], v[176:177]
	v_add_f64 v[12:13], v[178:179], v[16:17]
	v_mul_f64 v[16:17], v[207:208], s[16:17]
	v_fma_f64 v[178:179], v[233:234], s[34:35], -v[170:171]
	v_add_f64 v[164:165], v[247:248], v[164:165]
	v_fma_f64 v[176:177], v[193:194], s[34:35], -v[176:177]
	v_add_f64 v[8:9], v[168:169], v[8:9]
	v_mul_f64 v[247:248], v[124:125], s[50:51]
	v_fma_f64 v[251:252], v[191:192], s[2:3], v[174:175]
	v_add_f64 v[12:13], v[249:250], v[12:13]
	v_mul_f64 v[249:250], v[217:218], s[50:51]
	v_fma_f64 v[168:169], v[231:232], s[2:3], -v[16:17]
	v_add_f64 v[164:165], v[178:179], v[164:165]
	v_fma_f64 v[174:175], v[191:192], s[2:3], -v[174:175]
	v_fma_f64 v[10:11], v[211:212], s[28:29], v[10:11]
	v_add_f64 v[8:9], v[176:177], v[8:9]
	v_mov_b32_e32 v146, v201
	v_mov_b32_e32 v147, v202
	v_mul_f64 v[6:7], v[30:31], s[36:37]
	v_fma_f64 v[178:179], v[189:190], s[30:31], v[247:248]
	v_add_f64 v[12:13], v[251:252], v[12:13]
	v_mul_f64 v[176:177], v[146:147], s[36:37]
	v_fma_f64 v[251:252], v[229:230], s[30:31], -v[249:250]
	v_add_f64 v[164:165], v[168:169], v[164:165]
	v_fma_f64 v[168:169], v[189:190], s[30:31], -v[247:248]
	v_fma_f64 v[18:19], v[209:210], s[8:9], v[18:19]
	v_add_f64 v[10:11], v[96:97], v[10:11]
	v_add_f64 v[8:9], v[174:175], v[8:9]
	;; [unrolled: 1-line block ×3, first 2 shown]
	v_mul_f64 v[2:3], v[24:25], s[24:25]
	v_fma_f64 v[14:15], v[187:188], s[18:19], v[6:7]
	v_add_f64 v[12:13], v[178:179], v[12:13]
	v_fma_f64 v[174:175], v[227:228], s[18:19], -v[176:177]
	v_add_f64 v[164:165], v[251:252], v[164:165]
	v_fma_f64 v[6:7], v[187:188], s[18:19], -v[6:7]
	v_fma_f64 v[172:173], v[219:220], s[20:21], v[172:173]
	v_add_f64 v[10:11], v[18:19], v[10:11]
	v_add_f64 v[8:9], v[168:169], v[8:9]
	v_mul_f64 v[178:179], v[130:131], s[24:25]
	v_fma_f64 v[18:19], v[181:182], s[10:11], v[2:3]
	v_add_f64 v[12:13], v[14:15], v[12:13]
	v_add_f64 v[168:169], v[174:175], v[164:165]
	v_fma_f64 v[2:3], v[181:182], s[10:11], -v[2:3]
	v_fma_f64 v[174:175], v[233:234], s[34:35], v[170:171]
	v_add_f64 v[10:11], v[172:173], v[10:11]
	v_add_f64 v[6:7], v[6:7], v[8:9]
	;; [unrolled: 1-line block ×3, first 2 shown]
	v_mul_f64 v[0:1], v[22:23], s[40:41]
	v_mul_f64 v[8:9], v[160:161], s[40:41]
	v_fma_f64 v[14:15], v[225:226], s[10:11], -v[178:179]
	v_add_f64 v[170:171], v[18:19], v[12:13]
	v_fma_f64 v[4:5], v[231:232], s[2:3], v[16:17]
	v_add_f64 v[10:11], v[174:175], v[10:11]
	v_add_f64 v[174:175], v[2:3], v[6:7]
	v_mul_f64 v[6:7], v[185:186], s[16:17]
	v_fma_f64 v[12:13], v[199:200], s[30:31], v[0:1]
	v_mul_f64 v[16:17], v[156:157], s[16:17]
	v_fma_f64 v[18:19], v[211:212], s[30:31], -v[8:9]
	v_add_f64 v[168:169], v[14:15], v[168:169]
	v_fma_f64 v[2:3], v[225:226], s[10:11], v[178:179]
	v_fma_f64 v[14:15], v[229:230], s[30:31], v[249:250]
	v_add_f64 v[4:5], v[4:5], v[10:11]
	v_fma_f64 v[10:11], v[227:228], s[18:19], v[176:177]
	v_mul_f64 v[172:173], v[152:153], s[52:53]
	v_fma_f64 v[176:177], v[195:196], s[2:3], v[6:7]
	v_add_f64 v[12:13], v[98:99], v[12:13]
	v_mul_f64 v[247:248], v[183:184], s[52:53]
	v_fma_f64 v[178:179], v[209:210], s[2:3], -v[16:17]
	v_add_f64 v[18:19], v[96:97], v[18:19]
	v_fma_f64 v[0:1], v[199:200], s[30:31], -v[0:1]
	v_add_f64 v[4:5], v[14:15], v[4:5]
	v_mul_f64 v[14:15], v[150:151], s[38:39]
	v_fma_f64 v[249:250], v[197:198], s[28:29], v[172:173]
	v_add_f64 v[12:13], v[176:177], v[12:13]
	v_mul_f64 v[251:252], v[223:224], s[38:39]
	v_fma_f64 v[176:177], v[219:220], s[28:29], -v[247:248]
	v_add_f64 v[18:19], v[178:179], v[18:19]
	v_fma_f64 v[6:7], v[195:196], s[2:3], -v[6:7]
	v_add_f64 v[0:1], v[98:99], v[0:1]
	v_mov_b32_e32 v149, v21
	v_mul_f64 v[178:179], v[20:21], s[48:49]
	v_mov_b32_e32 v148, v20
	v_fma_f64 v[253:254], v[193:194], s[18:19], v[14:15]
	v_add_f64 v[12:13], v[249:250], v[12:13]
	v_mul_f64 v[249:250], v[207:208], s[48:49]
	v_fma_f64 v[20:21], v[233:234], s[18:19], -v[251:252]
	v_add_f64 v[18:19], v[176:177], v[18:19]
	v_fma_f64 v[172:173], v[197:198], s[28:29], -v[172:173]
	v_add_f64 v[0:1], v[6:7], v[0:1]
	v_mov_b32_e32 v145, v125
	v_mov_b32_e32 v154, v183
	;; [unrolled: 1-line block ×4, first 2 shown]
	v_mul_f64 v[6:7], v[144:145], s[22:23]
	v_fma_f64 v[176:177], v[191:192], s[34:35], v[178:179]
	v_add_f64 v[12:13], v[253:254], v[12:13]
	v_mul_f64 v[253:254], v[217:218], s[22:23]
	v_fma_f64 v[183:184], v[231:232], s[34:35], -v[249:250]
	v_add_f64 v[18:19], v[20:21], v[18:19]
	v_fma_f64 v[14:15], v[193:194], s[18:19], -v[14:15]
	v_add_f64 v[0:1], v[172:173], v[0:1]
	v_mul_f64 v[20:21], v[30:31], s[54:55]
	v_fma_f64 v[172:173], v[189:190], s[8:9], v[6:7]
	v_add_f64 v[12:13], v[176:177], v[12:13]
	v_mul_f64 v[201:202], v[146:147], s[54:55]
	v_fma_f64 v[176:177], v[229:230], s[8:9], -v[253:254]
	v_add_f64 v[18:19], v[183:184], v[18:19]
	v_fma_f64 v[178:179], v[191:192], s[34:35], -v[178:179]
	v_add_f64 v[0:1], v[14:15], v[0:1]
	v_mul_f64 v[14:15], v[24:25], s[46:47]
	v_fma_f64 v[183:184], v[187:188], s[10:11], v[20:21]
	v_add_f64 v[12:13], v[172:173], v[12:13]
	v_fma_f64 v[172:173], v[227:228], s[10:11], -v[201:202]
	v_fma_f64 v[6:7], v[189:190], s[8:9], -v[6:7]
	v_add_f64 v[18:19], v[176:177], v[18:19]
	v_add_f64 v[4:5], v[10:11], v[4:5]
	;; [unrolled: 1-line block ×3, first 2 shown]
	v_fma_f64 v[8:9], v[211:212], s[30:31], v[8:9]
	v_fma_f64 v[10:11], v[181:182], s[20:21], v[14:15]
	v_add_f64 v[12:13], v[183:184], v[12:13]
	v_fma_f64 v[176:177], v[225:226], s[20:21], -v[203:204]
	v_fma_f64 v[20:21], v[187:188], s[10:11], -v[20:21]
	v_add_f64 v[18:19], v[172:173], v[18:19]
	v_add_f64 v[172:173], v[2:3], v[4:5]
	v_add_f64 v[0:1], v[6:7], v[0:1]
	v_fma_f64 v[2:3], v[209:210], s[2:3], v[16:17]
	v_mul_f64 v[4:5], v[22:23], s[48:49]
	v_add_f64 v[6:7], v[96:97], v[8:9]
	v_add_f64 v[178:179], v[10:11], v[12:13]
	v_fma_f64 v[8:9], v[181:182], s[20:21], -v[14:15]
	v_fma_f64 v[10:11], v[219:220], s[28:29], v[247:248]
	v_mul_f64 v[12:13], v[185:186], s[24:25]
	v_mul_f64 v[16:17], v[160:161], s[48:49]
	s_mov_b32 s51, 0x3fc7851a
	v_fma_f64 v[14:15], v[199:200], s[34:35], v[4:5]
	v_add_f64 v[2:3], v[2:3], v[6:7]
	s_mov_b32 s50, s16
	v_add_f64 v[176:177], v[176:177], v[18:19]
	v_add_f64 v[0:1], v[20:21], v[0:1]
	v_fma_f64 v[6:7], v[233:234], s[18:19], v[251:252]
	v_mul_f64 v[18:19], v[152:153], s[50:51]
	v_fma_f64 v[20:21], v[195:196], s[10:11], v[12:13]
	v_add_f64 v[14:15], v[98:99], v[14:15]
	v_add_f64 v[2:3], v[10:11], v[2:3]
	v_fma_f64 v[10:11], v[225:226], s[20:21], v[203:204]
	v_mul_f64 v[203:204], v[156:157], s[24:25]
	v_fma_f64 v[247:248], v[211:212], s[34:35], -v[16:17]
	v_fma_f64 v[183:184], v[231:232], s[34:35], v[249:250]
	v_mul_f64 v[249:250], v[150:151], s[52:53]
	v_fma_f64 v[251:252], v[197:198], s[2:3], v[18:19]
	v_add_f64 v[14:15], v[20:21], v[14:15]
	v_add_f64 v[2:3], v[6:7], v[2:3]
	v_fma_f64 v[6:7], v[229:230], s[8:9], v[253:254]
	v_mul_f64 v[20:21], v[154:155], s[50:51]
	v_fma_f64 v[253:254], v[209:210], s[10:11], -v[203:204]
	v_add_f64 v[247:248], v[96:97], v[247:248]
	v_mul_f64 v[205:206], v[148:149], s[46:47]
	v_fma_f64 v[213:214], v[193:194], s[28:29], v[249:250]
	v_add_f64 v[14:15], v[251:252], v[14:15]
	v_add_f64 v[2:3], v[183:184], v[2:3]
	v_fma_f64 v[183:184], v[227:228], s[10:11], v[201:202]
	v_mul_f64 v[201:202], v[223:224], s[52:53]
	v_fma_f64 v[251:252], v[219:220], s[2:3], -v[20:21]
	v_add_f64 v[247:248], v[253:254], v[247:248]
	v_mul_f64 v[215:216], v[144:145], s[36:37]
	v_fma_f64 v[253:254], v[191:192], s[20:21], v[205:206]
	v_add_f64 v[14:15], v[213:214], v[14:15]
	v_add_f64 v[2:3], v[6:7], v[2:3]
	v_mul_f64 v[6:7], v[207:208], s[46:47]
	v_fma_f64 v[4:5], v[199:200], s[34:35], -v[4:5]
	v_fma_f64 v[213:214], v[233:234], s[28:29], -v[201:202]
	v_add_f64 v[247:248], v[251:252], v[247:248]
	v_fma_f64 v[251:252], v[189:190], s[18:19], v[215:216]
	v_fma_f64 v[12:13], v[195:196], s[10:11], -v[12:13]
	v_add_f64 v[14:15], v[253:254], v[14:15]
	v_mov_b32_e32 v125, v25
	v_fma_f64 v[253:254], v[231:232], s[20:21], -v[6:7]
	v_add_f64 v[4:5], v[98:99], v[4:5]
	v_mov_b32_e32 v124, v24
	v_add_f64 v[213:214], v[213:214], v[247:248]
	v_mul_f64 v[247:248], v[124:125], s[22:23]
	v_mul_f64 v[239:240], v[146:147], s[40:41]
	v_add_f64 v[14:15], v[251:252], v[14:15]
	v_fma_f64 v[18:19], v[197:198], s[2:3], -v[18:19]
	v_add_f64 v[2:3], v[183:184], v[2:3]
	v_add_f64 v[4:5], v[12:13], v[4:5]
	v_fma_f64 v[12:13], v[229:230], s[18:19], -v[235:236]
	v_add_f64 v[213:214], v[253:254], v[213:214]
	v_fma_f64 v[183:184], v[181:182], s[8:9], v[247:248]
	v_fma_f64 v[241:242], v[193:194], s[28:29], -v[249:250]
	v_add_f64 v[14:15], v[237:238], v[14:15]
	v_add_f64 v[253:254], v[8:9], v[0:1]
	;; [unrolled: 1-line block ×4, first 2 shown]
	v_fma_f64 v[18:19], v[227:228], s[30:31], -v[239:240]
	v_add_f64 v[12:13], v[12:13], v[213:214]
	v_mul_f64 v[2:3], v[22:23], s[44:45]
	v_fma_f64 v[0:1], v[191:192], s[20:21], -v[205:206]
	v_add_f64 v[249:250], v[183:184], v[14:15]
	v_fma_f64 v[14:15], v[211:212], s[34:35], v[16:17]
	v_fma_f64 v[16:17], v[189:190], s[18:19], -v[215:216]
	v_add_f64 v[4:5], v[241:242], v[4:5]
	v_fma_f64 v[203:204], v[209:210], s[10:11], v[203:204]
	v_add_f64 v[10:11], v[18:19], v[12:13]
	v_mul_f64 v[18:19], v[185:186], s[40:41]
	v_fma_f64 v[183:184], v[199:200], s[20:21], v[2:3]
	v_mul_f64 v[205:206], v[160:161], s[44:45]
	v_add_f64 v[14:15], v[96:97], v[14:15]
	v_mul_f64 v[213:214], v[152:153], s[24:25]
	v_add_f64 v[0:1], v[0:1], v[4:5]
	v_fma_f64 v[4:5], v[187:188], s[30:31], -v[221:222]
	v_fma_f64 v[12:13], v[181:182], s[8:9], -v[247:248]
	v_fma_f64 v[215:216], v[195:196], s[30:31], v[18:19]
	v_add_f64 v[183:184], v[98:99], v[183:184]
	v_fma_f64 v[221:222], v[211:212], s[20:21], -v[205:206]
	v_add_f64 v[14:15], v[203:204], v[14:15]
	v_mul_f64 v[203:204], v[150:151], s[16:17]
	v_add_f64 v[0:1], v[16:17], v[0:1]
	v_fma_f64 v[16:17], v[219:220], s[2:3], v[20:21]
	v_mul_f64 v[20:21], v[156:157], s[40:41]
	v_fma_f64 v[241:242], v[197:198], s[10:11], v[213:214]
	v_add_f64 v[183:184], v[215:216], v[183:184]
	v_fma_f64 v[201:202], v[233:234], s[28:29], v[201:202]
	v_mul_f64 v[215:216], v[154:155], s[24:25]
	v_add_f64 v[221:222], v[96:97], v[221:222]
	v_fma_f64 v[247:248], v[193:194], s[2:3], v[203:204]
	v_add_f64 v[14:15], v[16:17], v[14:15]
	v_fma_f64 v[243:244], v[209:210], s[30:31], -v[20:21]
	v_mul_f64 v[16:17], v[148:149], s[56:57]
	v_add_f64 v[183:184], v[241:242], v[183:184]
	v_mov_b32_e32 v129, v95
	v_mov_b32_e32 v128, v94
	;; [unrolled: 1-line block ×25, first 2 shown]
	v_fma_f64 v[6:7], v[231:232], s[20:21], v[6:7]
	v_mul_f64 v[241:242], v[223:224], s[16:17]
	v_fma_f64 v[24:25], v[219:220], s[10:11], -v[215:216]
	v_mov_b32_e32 v74, v28
	v_mov_b32_e32 v73, v27
	;; [unrolled: 1-line block ×3, first 2 shown]
	v_add_f64 v[26:27], v[243:244], v[221:222]
	v_add_f64 v[14:15], v[201:202], v[14:15]
	v_mul_f64 v[201:202], v[144:145], s[52:53]
	v_fma_f64 v[221:222], v[191:192], s[8:9], v[16:17]
	v_add_f64 v[183:184], v[247:248], v[183:184]
	v_mov_b32_e32 v159, v131
	v_mov_b32_e32 v158, v130
	;; [unrolled: 1-line block ×4, first 2 shown]
	v_fma_f64 v[235:236], v[229:230], s[18:19], v[235:236]
	v_mul_f64 v[243:244], v[207:208], s[56:57]
	v_fma_f64 v[247:248], v[233:234], s[2:3], -v[241:242]
	v_add_f64 v[24:25], v[24:25], v[26:27]
	v_add_f64 v[6:7], v[6:7], v[14:15]
	v_mul_f64 v[14:15], v[130:131], s[42:43]
	v_fma_f64 v[26:27], v[189:190], s[28:29], v[201:202]
	v_add_f64 v[183:184], v[221:222], v[183:184]
	v_mul_f64 v[237:238], v[158:159], s[22:23]
	v_fma_f64 v[221:222], v[227:228], s[30:31], v[239:240]
	v_mul_f64 v[239:240], v[217:218], s[52:53]
	v_fma_f64 v[28:29], v[231:232], s[8:9], -v[243:244]
	v_add_f64 v[24:25], v[247:248], v[24:25]
	v_add_f64 v[6:7], v[235:236], v[6:7]
	v_mul_f64 v[30:31], v[124:125], s[38:39]
	v_fma_f64 v[235:236], v[187:188], s[34:35], v[14:15]
	v_add_f64 v[26:27], v[26:27], v[183:184]
	v_add_f64 v[0:1], v[4:5], v[0:1]
	v_mul_f64 v[4:5], v[146:147], s[42:43]
	v_fma_f64 v[183:184], v[229:230], s[28:29], -v[239:240]
	v_add_f64 v[24:25], v[28:29], v[24:25]
	v_fma_f64 v[28:29], v[225:226], s[8:9], v[237:238]
	v_add_f64 v[6:7], v[221:222], v[6:7]
	v_fma_f64 v[221:222], v[181:182], s[18:19], v[30:31]
	v_add_f64 v[26:27], v[235:236], v[26:27]
	v_mov_b32_e32 v63, v55
	v_mov_b32_e32 v62, v54
	;; [unrolled: 1-line block ×5, first 2 shown]
	v_fma_f64 v[8:9], v[225:226], s[8:9], -v[237:238]
	v_fma_f64 v[237:238], v[199:200], s[20:21], -v[2:3]
	v_mov_b32_e32 v54, v34
	v_mov_b32_e32 v53, v33
	;; [unrolled: 1-line block ×3, first 2 shown]
	v_fma_f64 v[32:33], v[227:228], s[34:35], -v[4:5]
	v_add_f64 v[24:25], v[183:184], v[24:25]
	v_add_f64 v[2:3], v[12:13], v[0:1]
	;; [unrolled: 1-line block ×4, first 2 shown]
	v_fma_f64 v[26:27], v[211:212], s[20:21], v[205:206]
	v_mul_f64 v[22:23], v[22:23], s[36:37]
	v_fma_f64 v[20:21], v[209:210], s[30:31], v[20:21]
	v_add_f64 v[247:248], v[8:9], v[10:11]
	v_add_f64 v[24:25], v[32:33], v[24:25]
	v_mul_f64 v[32:33], v[185:186], s[44:45]
	v_fma_f64 v[8:9], v[195:196], s[30:31], -v[18:19]
	v_add_f64 v[10:11], v[98:99], v[237:238]
	v_add_f64 v[26:27], v[96:97], v[26:27]
	v_fma_f64 v[34:35], v[199:200], s[18:19], v[22:23]
	v_fma_f64 v[28:29], v[197:198], s[10:11], -v[213:214]
	v_fma_f64 v[12:13], v[181:182], s[18:19], -v[30:31]
	;; [unrolled: 1-line block ×3, first 2 shown]
	v_fma_f64 v[183:184], v[195:196], s[20:21], v[32:33]
	v_fma_f64 v[16:17], v[191:192], s[8:9], -v[16:17]
	v_add_f64 v[8:9], v[8:9], v[10:11]
	v_add_f64 v[20:21], v[20:21], v[26:27]
	v_mul_f64 v[26:27], v[152:153], s[48:49]
	v_add_f64 v[34:35], v[98:99], v[34:35]
	v_fma_f64 v[10:11], v[189:190], s[28:29], -v[201:202]
	v_fma_f64 v[14:15], v[187:188], s[34:35], -v[14:15]
	v_fma_f64 v[4:5], v[227:228], s[34:35], v[4:5]
	v_fma_f64 v[22:23], v[199:200], s[18:19], -v[22:23]
	v_add_f64 v[8:9], v[28:29], v[8:9]
	v_fma_f64 v[28:29], v[219:220], s[10:11], v[215:216]
	v_fma_f64 v[108:109], v[197:198], s[34:35], v[26:27]
	v_add_f64 v[34:35], v[183:184], v[34:35]
	v_fma_f64 v[32:33], v[195:196], s[20:21], -v[32:33]
	v_fma_f64 v[26:27], v[197:198], s[34:35], -v[26:27]
	v_mul_f64 v[235:236], v[158:159], s[38:39]
	v_add_f64 v[22:23], v[98:99], v[22:23]
	v_add_f64 v[8:9], v[30:31], v[8:9]
	v_fma_f64 v[30:31], v[233:234], s[2:3], v[241:242]
	v_add_f64 v[20:21], v[28:29], v[20:21]
	v_add_f64 v[34:35], v[108:109], v[34:35]
	buffer_load_dword v106, off, s[60:63], 0 offset:216 ; 4-byte Folded Reload
	buffer_load_dword v107, off, s[60:63], 0 offset:220 ; 4-byte Folded Reload
	;; [unrolled: 1-line block ×4, first 2 shown]
	v_mul_f64 v[28:29], v[150:151], s[40:41]
	v_fma_f64 v[18:19], v[225:226], s[18:19], -v[235:236]
	v_add_f64 v[22:23], v[32:33], v[22:23]
	v_add_f64 v[8:9], v[16:17], v[8:9]
	v_fma_f64 v[16:17], v[231:232], s[8:9], v[243:244]
	v_add_f64 v[20:21], v[30:31], v[20:21]
	v_mul_f64 v[30:31], v[148:149], s[26:27]
	v_fma_f64 v[104:105], v[193:194], s[30:31], v[28:29]
	v_fma_f64 v[28:29], v[193:194], s[30:31], -v[28:29]
	v_add_f64 v[22:23], v[26:27], v[22:23]
	v_add_f64 v[8:9], v[10:11], v[8:9]
	v_fma_f64 v[10:11], v[229:230], s[28:29], v[239:240]
	v_add_f64 v[16:17], v[16:17], v[20:21]
	v_mul_f64 v[20:21], v[144:145], s[24:25]
	v_add_f64 v[34:35], v[104:105], v[34:35]
	v_add_f64 v[22:23], v[28:29], v[22:23]
	;; [unrolled: 1-line block ×4, first 2 shown]
	v_mul_f64 v[16:17], v[130:131], s[22:23]
	v_fma_f64 v[104:105], v[189:190], s[10:11], v[20:21]
	v_fma_f64 v[20:21], v[189:190], s[10:11], -v[20:21]
	v_add_f64 v[4:5], v[4:5], v[10:11]
	v_mul_f64 v[10:11], v[124:125], s[16:17]
	v_mul_f64 v[124:125], v[154:155], s[48:49]
	v_fma_f64 v[32:33], v[219:220], s[34:35], v[124:125]
	s_waitcnt vmcnt(0)
	v_add_f64 v[102:103], v[102:103], v[108:109]
	buffer_load_dword v108, off, s[60:63], 0 offset:296 ; 4-byte Folded Reload
	buffer_load_dword v109, off, s[60:63], 0 offset:300 ; 4-byte Folded Reload
	;; [unrolled: 1-line block ×4, first 2 shown]
	v_add_f64 v[100:101], v[100:101], v[106:107]
	v_fma_f64 v[106:107], v[191:192], s[28:29], v[30:31]
	v_fma_f64 v[30:31], v[191:192], s[28:29], -v[30:31]
	v_add_f64 v[14:15], v[102:103], v[114:115]
	v_mul_f64 v[114:115], v[223:224], s[40:41]
	v_add_f64 v[102:103], v[100:101], v[112:113]
	v_add_f64 v[100:101], v[12:13], v[8:9]
	v_mul_f64 v[112:113], v[207:208], s[26:27]
	v_add_f64 v[34:35], v[106:107], v[34:35]
	v_add_f64 v[22:23], v[30:31], v[22:23]
	v_fma_f64 v[106:107], v[225:226], s[18:19], v[235:236]
	v_fma_f64 v[26:27], v[233:234], s[30:31], v[114:115]
	;; [unrolled: 1-line block ×3, first 2 shown]
	v_add_f64 v[34:35], v[104:105], v[34:35]
	v_mul_f64 v[104:105], v[146:147], s[22:23]
	v_add_f64 v[20:21], v[20:21], v[22:23]
	v_fma_f64 v[22:23], v[227:228], s[8:9], v[104:105]
	s_waitcnt vmcnt(0)
	v_add_f64 v[8:9], v[14:15], v[110:111]
	v_add_f64 v[12:13], v[102:103], v[108:109]
	v_mul_f64 v[108:109], v[160:161], s[36:37]
	v_mul_f64 v[110:111], v[217:218], s[24:25]
	buffer_load_dword v217, off, s[60:63], 0 offset:48 ; 4-byte Folded Reload
	buffer_load_dword v218, off, s[60:63], 0 offset:52 ; 4-byte Folded Reload
	v_fma_f64 v[14:15], v[187:188], s[8:9], v[16:17]
	v_fma_f64 v[16:17], v[187:188], s[8:9], -v[16:17]
	v_mul_f64 v[102:103], v[158:159], s[16:17]
	v_add_f64 v[8:9], v[8:9], v[118:119]
	v_add_f64 v[12:13], v[12:13], v[116:117]
	v_mul_f64 v[116:117], v[156:157], s[44:45]
	v_fma_f64 v[118:119], v[211:212], s[18:19], v[108:109]
	v_fma_f64 v[108:109], v[211:212], s[18:19], -v[108:109]
	v_fma_f64 v[30:31], v[229:230], s[10:11], v[110:111]
	v_add_f64 v[16:17], v[16:17], v[20:21]
	v_fma_f64 v[20:21], v[225:226], s[2:3], v[102:103]
	v_add_f64 v[8:9], v[8:9], v[134:135]
	v_add_f64 v[12:13], v[12:13], v[132:133]
	v_fma_f64 v[98:99], v[209:210], s[20:21], v[116:117]
	v_add_f64 v[118:119], v[96:97], v[118:119]
	v_fma_f64 v[116:117], v[209:210], s[20:21], -v[116:117]
	v_add_f64 v[96:97], v[96:97], v[108:109]
	v_fma_f64 v[108:109], v[219:220], s[34:35], -v[124:125]
	v_add_f64 v[34:35], v[14:15], v[34:35]
	v_add_f64 v[8:9], v[8:9], v[122:123]
	;; [unrolled: 1-line block ×8, first 2 shown]
	v_fma_f64 v[98:99], v[233:234], s[30:31], -v[114:115]
	v_add_f64 v[96:97], v[108:109], v[96:97]
	v_add_f64 v[8:9], v[8:9], v[138:139]
	;; [unrolled: 1-line block ×4, first 2 shown]
	v_fma_f64 v[32:33], v[231:232], s[28:29], -v[112:113]
	v_add_f64 v[96:97], v[98:99], v[96:97]
	v_add_f64 v[8:9], v[8:9], v[42:43]
	;; [unrolled: 1-line block ×3, first 2 shown]
	buffer_load_dword v40, off, s[60:63], 0 offset:88 ; 4-byte Folded Reload
	buffer_load_dword v41, off, s[60:63], 0 offset:92 ; 4-byte Folded Reload
	;; [unrolled: 1-line block ×4, first 2 shown]
	v_add_f64 v[26:27], v[28:29], v[26:27]
	v_fma_f64 v[28:29], v[229:230], s[10:11], -v[110:111]
	v_add_f64 v[32:33], v[32:33], v[96:97]
	v_add_f64 v[8:9], v[8:9], v[38:39]
	;; [unrolled: 1-line block ×3, first 2 shown]
	buffer_load_dword v36, off, s[60:63], 0 offset:56 ; 4-byte Folded Reload
	buffer_load_dword v37, off, s[60:63], 0 offset:60 ; 4-byte Folded Reload
	;; [unrolled: 1-line block ×8, first 2 shown]
	v_add_f64 v[26:27], v[30:31], v[26:27]
	v_fma_f64 v[30:31], v[227:228], s[8:9], -v[104:105]
	v_add_f64 v[28:29], v[28:29], v[32:33]
	v_fma_f64 v[32:33], v[181:182], s[2:3], -v[10:11]
	v_add_f64 v[22:23], v[22:23], v[26:27]
	v_fma_f64 v[26:27], v[181:182], s[2:3], v[10:11]
	v_add_f64 v[28:29], v[30:31], v[28:29]
	v_add_f64 v[10:11], v[32:33], v[16:17]
	s_waitcnt vmcnt(0)
	v_add_f64 v[8:9], v[8:9], v[98:99]
	v_add_f64 v[12:13], v[12:13], v[96:97]
	buffer_load_dword v96, off, s[60:63], 0 offset:168 ; 4-byte Folded Reload
	buffer_load_dword v97, off, s[60:63], 0 offset:172 ; 4-byte Folded Reload
	;; [unrolled: 1-line block ×8, first 2 shown]
	s_waitcnt vmcnt(4)
	v_add_f64 v[8:9], v[8:9], v[98:99]
	v_add_f64 v[12:13], v[12:13], v[96:97]
	;; [unrolled: 1-line block ×3, first 2 shown]
	v_fma_f64 v[96:97], v[225:226], s[2:3], -v[102:103]
	v_add_f64 v[4:5], v[18:19], v[24:25]
	v_add_f64 v[18:19], v[26:27], v[34:35]
	s_waitcnt vmcnt(0)
	v_add_f64 v[14:15], v[8:9], v[32:33]
	v_add_f64 v[12:13], v[12:13], v[30:31]
	;; [unrolled: 1-line block ×3, first 2 shown]
	v_mul_lo_u16_e32 v20, 17, v255
	v_lshlrev_b32_e32 v20, 4, v20
	ds_write_b128 v20, v[12:15]
	ds_write_b128 v20, v[8:11] offset:16
	ds_write_b128 v20, v[98:101] offset:32
	;; [unrolled: 1-line block ×5, first 2 shown]
	buffer_load_dword v173, off, s[60:63], 0 offset:160 ; 4-byte Folded Reload
	buffer_load_dword v172, off, s[60:63], 0 offset:152 ; 4-byte Folded Reload
	ds_write_b128 v20, v[164:167] offset:96
	buffer_load_dword v0, off, s[60:63], 0 offset:280 ; 4-byte Folded Reload
	buffer_load_dword v1, off, s[60:63], 0 offset:284 ; 4-byte Folded Reload
	;; [unrolled: 1-line block ×4, first 2 shown]
	v_add_f64 v[16:17], v[96:97], v[28:29]
	v_mov_b32_e32 v26, v72
	v_mov_b32_e32 v27, v73
	;; [unrolled: 1-line block ×36, first 2 shown]
	s_waitcnt vmcnt(0)
	ds_write_b128 v20, v[0:3] offset:112
	buffer_load_dword v162, off, s[60:63], 0 offset:104 ; 4-byte Folded Reload
	buffer_load_dword v163, off, s[60:63], 0 offset:108 ; 4-byte Folded Reload
	;; [unrolled: 1-line block ×8, first 2 shown]
	s_waitcnt vmcnt(0)
	ds_write_b128 v20, v[0:3] offset:128
	buffer_load_dword v0, off, s[60:63], 0 offset:184 ; 4-byte Folded Reload
	buffer_load_dword v1, off, s[60:63], 0 offset:188 ; 4-byte Folded Reload
	buffer_load_dword v2, off, s[60:63], 0 offset:192 ; 4-byte Folded Reload
	buffer_load_dword v3, off, s[60:63], 0 offset:196 ; 4-byte Folded Reload
	s_waitcnt vmcnt(0)
	ds_write_b128 v20, v[0:3] offset:144
	buffer_load_dword v0, off, s[60:63], 0 offset:248 ; 4-byte Folded Reload
	buffer_load_dword v1, off, s[60:63], 0 offset:252 ; 4-byte Folded Reload
	buffer_load_dword v2, off, s[60:63], 0 offset:256 ; 4-byte Folded Reload
	buffer_load_dword v3, off, s[60:63], 0 offset:260 ; 4-byte Folded Reload
	;; [unrolled: 6-line block ×4, first 2 shown]
	ds_write_b128 v20, v[168:171] offset:192
	buffer_load_dword v171, off, s[60:63], 0 offset:144 ; 4-byte Folded Reload
	buffer_load_dword v170, off, s[60:63], 0 offset:136 ; 4-byte Folded Reload
	buffer_load_dword v166, off, s[60:63], 0 offset:120 ; 4-byte Folded Reload
	buffer_load_dword v167, off, s[60:63], 0 offset:124 ; 4-byte Folded Reload
	buffer_load_dword v168, off, s[60:63], 0 offset:128 ; 4-byte Folded Reload
	buffer_load_dword v169, off, s[60:63], 0 offset:132 ; 4-byte Folded Reload
	ds_write_b128 v20, v[176:179] offset:208
	ds_write_b128 v20, v[247:250] offset:224
	;; [unrolled: 1-line block ×4, first 2 shown]
.LBB0_13:
	s_or_b64 exec, exec, s[0:1]
	s_waitcnt lgkmcnt(0)
	; wave barrier
	s_waitcnt lgkmcnt(0)
	ds_read_b128 v[0:3], v245 offset:3264
	ds_read_b128 v[4:7], v245
	ds_read_b128 v[8:11], v245 offset:816
	ds_read_b128 v[12:15], v245 offset:4080
	;; [unrolled: 1-line block ×4, first 2 shown]
	s_waitcnt lgkmcnt(5)
	v_mul_f64 v[22:23], v[28:29], v[0:1]
	v_mul_f64 v[20:21], v[28:29], v[2:3]
	ds_read_b128 v[100:103], v245 offset:1632
	ds_read_b128 v[104:107], v245 offset:2448
	s_waitcnt lgkmcnt(3)
	v_mul_f64 v[24:25], v[54:55], v[18:19]
	ds_read_b128 v[108:111], v245 offset:4896
	ds_read_b128 v[112:115], v245 offset:5712
	;; [unrolled: 1-line block ×4, first 2 shown]
	s_waitcnt lgkmcnt(6)
	v_mul_f64 v[28:29], v[34:35], v[98:99]
	s_mov_b32 s2, 0xe8584caa
	v_fma_f64 v[2:3], v[26:27], v[2:3], -v[22:23]
	v_mul_f64 v[22:23], v[38:39], v[14:15]
	v_fma_f64 v[20:21], v[26:27], v[0:1], v[20:21]
	v_mul_f64 v[0:1], v[54:55], v[16:17]
	v_mul_f64 v[26:27], v[38:39], v[12:13]
	v_fma_f64 v[16:17], v[52:53], v[16:17], v[24:25]
	v_mul_f64 v[24:25], v[34:35], v[96:97]
	s_waitcnt lgkmcnt(3)
	v_mul_f64 v[30:31], v[42:43], v[110:111]
	v_fma_f64 v[28:29], v[32:33], v[96:97], v[28:29]
	v_fma_f64 v[22:23], v[36:37], v[12:13], v[22:23]
	s_waitcnt vmcnt(6) lgkmcnt(1)
	v_mul_f64 v[12:13], v[160:161], v[118:119]
	v_fma_f64 v[18:19], v[52:53], v[18:19], -v[0:1]
	v_mul_f64 v[0:1], v[42:43], v[108:109]
	v_fma_f64 v[26:27], v[36:37], v[14:15], -v[26:27]
	v_fma_f64 v[24:25], v[32:33], v[98:99], -v[24:25]
	v_mul_f64 v[14:15], v[160:161], v[116:117]
	s_waitcnt vmcnt(0)
	v_mul_f64 v[32:33], v[168:169], v[112:113]
	v_add_f64 v[42:43], v[20:21], v[16:17]
	v_fma_f64 v[52:53], v[158:159], v[116:117], v[12:13]
	s_waitcnt lgkmcnt(0)
	v_mul_f64 v[12:13], v[164:165], v[122:123]
	v_fma_f64 v[30:31], v[40:41], v[108:109], v[30:31]
	v_fma_f64 v[34:35], v[40:41], v[110:111], -v[0:1]
	v_mul_f64 v[0:1], v[168:169], v[114:115]
	v_fma_f64 v[54:55], v[158:159], v[118:119], -v[14:15]
	v_add_f64 v[14:15], v[4:5], v[20:21]
	v_fma_f64 v[40:41], v[166:167], v[114:115], -v[32:33]
	v_fma_f64 v[32:33], v[42:43], -0.5, v[4:5]
	v_add_f64 v[42:43], v[2:3], -v[18:19]
	v_fma_f64 v[62:63], v[162:163], v[120:121], v[12:13]
	v_add_f64 v[12:13], v[2:3], v[18:19]
	v_add_f64 v[2:3], v[6:7], v[2:3]
	v_mul_f64 v[38:39], v[164:165], v[120:121]
	v_fma_f64 v[60:61], v[166:167], v[112:113], v[0:1]
	v_add_f64 v[0:1], v[14:15], v[16:17]
	v_add_f64 v[14:15], v[22:23], v[28:29]
	v_add_f64 v[16:17], v[20:21], -v[16:17]
	s_mov_b32 s3, 0xbfebb67a
	v_fma_f64 v[36:37], v[12:13], -0.5, v[6:7]
	v_add_f64 v[2:3], v[2:3], v[18:19]
	v_add_f64 v[18:19], v[26:27], v[24:25]
	s_mov_b32 s1, 0x3febb67a
	s_mov_b32 s0, s2
	v_fma_f64 v[4:5], v[42:43], s[2:3], v[32:33]
	v_fma_f64 v[12:13], v[42:43], s[0:1], v[32:33]
	v_add_f64 v[20:21], v[8:9], v[22:23]
	v_add_f64 v[42:43], v[26:27], -v[24:25]
	v_add_f64 v[96:97], v[30:31], v[52:53]
	v_add_f64 v[26:27], v[10:11], v[26:27]
	v_fma_f64 v[38:39], v[162:163], v[122:123], -v[38:39]
	v_fma_f64 v[32:33], v[14:15], -0.5, v[8:9]
	v_fma_f64 v[6:7], v[16:17], s[0:1], v[36:37]
	v_fma_f64 v[14:15], v[16:17], s[2:3], v[36:37]
	v_fma_f64 v[36:37], v[18:19], -0.5, v[10:11]
	v_add_f64 v[22:23], v[22:23], -v[28:29]
	v_add_f64 v[8:9], v[20:21], v[28:29]
	v_add_f64 v[28:29], v[100:101], v[30:31]
	v_fma_f64 v[96:97], v[96:97], -0.5, v[100:101]
	v_add_f64 v[98:99], v[34:35], -v[54:55]
	v_add_f64 v[10:11], v[26:27], v[24:25]
	v_add_f64 v[26:27], v[34:35], v[54:55]
	v_fma_f64 v[16:17], v[42:43], s[2:3], v[32:33]
	v_fma_f64 v[20:21], v[42:43], s[0:1], v[32:33]
	;; [unrolled: 1-line block ×4, first 2 shown]
	v_add_f64 v[36:37], v[60:61], v[62:63]
	v_add_f64 v[42:43], v[40:41], v[38:39]
	;; [unrolled: 1-line block ×4, first 2 shown]
	v_fma_f64 v[28:29], v[98:99], s[2:3], v[96:97]
	v_fma_f64 v[32:33], v[98:99], s[0:1], v[96:97]
	v_fma_f64 v[96:97], v[26:27], -0.5, v[102:103]
	v_add_f64 v[52:53], v[30:31], -v[52:53]
	v_add_f64 v[98:99], v[104:105], v[60:61]
	v_fma_f64 v[100:101], v[36:37], -0.5, v[104:105]
	v_add_f64 v[102:103], v[40:41], -v[38:39]
	v_add_f64 v[104:105], v[106:107], v[40:41]
	;; [unrolled: 3-line block ×3, first 2 shown]
	v_fma_f64 v[30:31], v[52:53], s[0:1], v[96:97]
	v_fma_f64 v[34:35], v[52:53], s[2:3], v[96:97]
	v_add_f64 v[36:37], v[98:99], v[62:63]
	v_fma_f64 v[40:41], v[102:103], s[2:3], v[100:101]
	v_fma_f64 v[52:53], v[102:103], s[0:1], v[100:101]
	v_add_f64 v[38:39], v[104:105], v[38:39]
	v_fma_f64 v[42:43], v[60:61], s[0:1], v[106:107]
	v_fma_f64 v[54:55], v[60:61], s[2:3], v[106:107]
	s_waitcnt lgkmcnt(0)
	; wave barrier
	ds_write_b128 v170, v[0:3]
	ds_write_b128 v170, v[4:7] offset:272
	ds_write_b128 v170, v[12:15] offset:544
	ds_write_b128 v171, v[8:11]
	ds_write_b128 v171, v[16:19] offset:272
	ds_write_b128 v171, v[20:23] offset:544
	;; [unrolled: 3-line block ×4, first 2 shown]
	s_waitcnt lgkmcnt(0)
	; wave barrier
	s_waitcnt lgkmcnt(0)
	ds_read_b128 v[0:3], v245
	ds_read_b128 v[4:7], v245 offset:816
	ds_read_b128 v[8:11], v245 offset:1632
	;; [unrolled: 1-line block ×7, first 2 shown]
	s_waitcnt lgkmcnt(5)
	v_mul_f64 v[60:61], v[70:71], v[10:11]
	v_mul_f64 v[62:63], v[70:71], v[8:9]
	ds_read_b128 v[32:35], v245 offset:6528
	ds_read_b128 v[36:39], v245 offset:7344
	s_waitcnt lgkmcnt(3)
	v_mul_f64 v[100:101], v[58:59], v[26:27]
	ds_read_b128 v[40:43], v245 offset:8160
	ds_read_b128 v[52:55], v245 offset:8976
	v_mul_f64 v[96:97], v[66:67], v[18:19]
	v_mul_f64 v[98:99], v[66:67], v[16:17]
	s_waitcnt lgkmcnt(0)
	v_fma_f64 v[8:9], v[68:69], v[8:9], v[60:61]
	v_mul_f64 v[60:61], v[58:59], v[24:25]
	v_fma_f64 v[10:11], v[68:69], v[10:11], -v[62:63]
	v_mul_f64 v[62:63], v[50:51], v[34:35]
	v_fma_f64 v[24:25], v[56:57], v[24:25], v[100:101]
	v_mul_f64 v[100:101], v[46:47], v[40:41]
	v_fma_f64 v[16:17], v[64:65], v[16:17], v[96:97]
	v_mul_f64 v[96:97], v[50:51], v[32:33]
	v_fma_f64 v[18:19], v[64:65], v[18:19], -v[98:99]
	v_fma_f64 v[26:27], v[56:57], v[26:27], -v[60:61]
	v_mul_f64 v[60:61], v[70:71], v[14:15]
	v_mul_f64 v[98:99], v[46:47], v[42:43]
	v_fma_f64 v[32:33], v[48:49], v[32:33], v[62:63]
	v_mul_f64 v[62:63], v[70:71], v[12:13]
	v_mul_f64 v[70:71], v[66:67], v[22:23]
	v_fma_f64 v[42:43], v[44:45], v[42:43], -v[100:101]
	v_fma_f64 v[34:35], v[48:49], v[34:35], -v[96:97]
	v_mul_f64 v[66:67], v[66:67], v[20:21]
	v_fma_f64 v[60:61], v[68:69], v[12:13], v[60:61]
	v_mul_f64 v[12:13], v[58:59], v[30:31]
	v_mul_f64 v[58:59], v[58:59], v[28:29]
	v_fma_f64 v[40:41], v[44:45], v[40:41], v[98:99]
	v_fma_f64 v[62:63], v[68:69], v[14:15], -v[62:63]
	v_fma_f64 v[68:69], v[64:65], v[20:21], v[70:71]
	v_mul_f64 v[14:15], v[50:51], v[38:39]
	v_mul_f64 v[20:21], v[50:51], v[36:37]
	v_add_f64 v[50:51], v[16:17], v[32:33]
	v_fma_f64 v[28:29], v[56:57], v[28:29], v[12:13]
	v_fma_f64 v[30:31], v[56:57], v[30:31], -v[58:59]
	v_mul_f64 v[12:13], v[46:47], v[54:55]
	v_add_f64 v[56:57], v[26:27], v[42:43]
	v_fma_f64 v[22:23], v[64:65], v[22:23], -v[66:67]
	v_fma_f64 v[36:37], v[48:49], v[36:37], v[14:15]
	v_fma_f64 v[38:39], v[48:49], v[38:39], -v[20:21]
	v_add_f64 v[14:15], v[0:1], v[16:17]
	v_fma_f64 v[0:1], v[50:51], -0.5, v[0:1]
	v_add_f64 v[20:21], v[18:19], -v[34:35]
	v_add_f64 v[48:49], v[24:25], v[40:41]
	v_fma_f64 v[50:51], v[44:45], v[52:53], v[12:13]
	v_fma_f64 v[12:13], v[56:57], -0.5, v[10:11]
	v_add_f64 v[56:57], v[24:25], -v[40:41]
	v_mul_f64 v[46:47], v[46:47], v[52:53]
	v_add_f64 v[52:53], v[14:15], v[32:33]
	v_add_f64 v[14:15], v[18:19], v[34:35]
	v_fma_f64 v[58:59], v[20:21], s[2:3], v[0:1]
	v_fma_f64 v[48:49], v[48:49], -0.5, v[8:9]
	v_add_f64 v[64:65], v[26:27], -v[42:43]
	v_fma_f64 v[66:67], v[20:21], s[0:1], v[0:1]
	v_fma_f64 v[0:1], v[56:57], s[0:1], v[12:13]
	;; [unrolled: 1-line block ×3, first 2 shown]
	v_add_f64 v[18:19], v[2:3], v[18:19]
	v_add_f64 v[8:9], v[8:9], v[24:25]
	v_fma_f64 v[2:3], v[14:15], -0.5, v[2:3]
	v_add_f64 v[14:15], v[16:17], -v[32:33]
	v_fma_f64 v[16:17], v[64:65], s[2:3], v[48:49]
	v_fma_f64 v[20:21], v[64:65], s[0:1], v[48:49]
	v_mul_f64 v[24:25], v[0:1], s[2:3]
	v_mul_f64 v[32:33], v[12:13], s[2:3]
	v_add_f64 v[10:11], v[10:11], v[26:27]
	v_add_f64 v[18:19], v[18:19], v[34:35]
	v_mul_f64 v[0:1], v[0:1], 0.5
	v_add_f64 v[34:35], v[8:9], v[40:41]
	v_fma_f64 v[44:45], v[44:45], v[54:55], -v[46:47]
	v_mul_f64 v[12:13], v[12:13], -0.5
	v_fma_f64 v[24:25], v[16:17], 0.5, v[24:25]
	v_fma_f64 v[32:33], v[20:21], -0.5, v[32:33]
	v_add_f64 v[40:41], v[10:11], v[42:43]
	v_add_f64 v[46:47], v[68:69], v[36:37]
	v_fma_f64 v[48:49], v[16:17], s[0:1], v[0:1]
	v_add_f64 v[0:1], v[52:53], v[34:35]
	v_add_f64 v[16:17], v[52:53], -v[34:35]
	v_add_f64 v[34:35], v[30:31], v[44:45]
	v_fma_f64 v[26:27], v[14:15], s[0:1], v[2:3]
	v_fma_f64 v[42:43], v[14:15], s[2:3], v[2:3]
	;; [unrolled: 1-line block ×3, first 2 shown]
	v_add_f64 v[8:9], v[58:59], v[24:25]
	v_add_f64 v[12:13], v[66:67], v[32:33]
	;; [unrolled: 1-line block ×3, first 2 shown]
	v_add_f64 v[20:21], v[58:59], -v[24:25]
	v_add_f64 v[52:53], v[4:5], v[68:69]
	v_add_f64 v[24:25], v[66:67], -v[32:33]
	v_fma_f64 v[4:5], v[46:47], -0.5, v[4:5]
	v_add_f64 v[32:33], v[22:23], -v[38:39]
	v_add_f64 v[46:47], v[28:29], v[50:51]
	v_add_f64 v[18:19], v[18:19], -v[40:41]
	v_fma_f64 v[34:35], v[34:35], -0.5, v[62:63]
	v_add_f64 v[40:41], v[28:29], -v[50:51]
	v_add_f64 v[54:55], v[6:7], v[22:23]
	v_add_f64 v[22:23], v[22:23], v[38:39]
	v_add_f64 v[64:65], v[30:31], -v[44:45]
	v_fma_f64 v[58:59], v[32:33], s[2:3], v[4:5]
	v_fma_f64 v[46:47], v[46:47], -0.5, v[60:61]
	v_fma_f64 v[66:67], v[32:33], s[0:1], v[4:5]
	v_add_f64 v[28:29], v[60:61], v[28:29]
	v_fma_f64 v[4:5], v[40:41], s[0:1], v[34:35]
	v_fma_f64 v[32:33], v[40:41], s[2:3], v[34:35]
	v_add_f64 v[30:31], v[62:63], v[30:31]
	v_add_f64 v[52:53], v[52:53], v[36:37]
	v_fma_f64 v[6:7], v[22:23], -0.5, v[6:7]
	v_add_f64 v[22:23], v[68:69], -v[36:37]
	v_fma_f64 v[34:35], v[64:65], s[2:3], v[46:47]
	v_fma_f64 v[36:37], v[64:65], s[0:1], v[46:47]
	v_mul_f64 v[40:41], v[4:5], s[2:3]
	v_mul_f64 v[46:47], v[32:33], s[2:3]
	v_mul_f64 v[4:5], v[4:5], 0.5
	v_mul_f64 v[32:33], v[32:33], -0.5
	v_add_f64 v[38:39], v[54:55], v[38:39]
	v_add_f64 v[50:51], v[28:29], v[50:51]
	;; [unrolled: 1-line block ×3, first 2 shown]
	v_fma_f64 v[54:55], v[22:23], s[0:1], v[6:7]
	v_fma_f64 v[60:61], v[22:23], s[2:3], v[6:7]
	v_fma_f64 v[40:41], v[34:35], 0.5, v[40:41]
	v_fma_f64 v[46:47], v[36:37], -0.5, v[46:47]
	v_fma_f64 v[64:65], v[34:35], s[0:1], v[4:5]
	v_fma_f64 v[68:69], v[36:37], s[0:1], v[32:33]
	v_add_f64 v[10:11], v[26:27], v[48:49]
	v_add_f64 v[14:15], v[42:43], v[56:57]
	v_add_f64 v[22:23], v[26:27], -v[48:49]
	v_add_f64 v[26:27], v[42:43], -v[56:57]
	v_add_f64 v[4:5], v[52:53], v[50:51]
	v_add_f64 v[6:7], v[38:39], v[62:63]
	;; [unrolled: 1-line block ×6, first 2 shown]
	v_add_f64 v[36:37], v[52:53], -v[50:51]
	v_add_f64 v[40:41], v[58:59], -v[40:41]
	;; [unrolled: 1-line block ×6, first 2 shown]
	; wave barrier
	ds_write_b128 v245, v[0:3]
	ds_write_b128 v245, v[8:11] offset:816
	ds_write_b128 v245, v[12:15] offset:1632
	;; [unrolled: 1-line block ×11, first 2 shown]
	s_waitcnt lgkmcnt(0)
	; wave barrier
	s_waitcnt lgkmcnt(0)
	ds_read_b128 v[0:3], v245
	ds_read_b128 v[4:7], v245 offset:816
	ds_read_b128 v[8:11], v245 offset:4896
	;; [unrolled: 1-line block ×11, first 2 shown]
	s_waitcnt lgkmcnt(9)
	v_mul_f64 v[48:49], v[74:75], v[10:11]
	v_mul_f64 v[50:51], v[74:75], v[8:9]
	s_waitcnt lgkmcnt(8)
	v_mul_f64 v[52:53], v[78:79], v[14:15]
	v_mul_f64 v[54:55], v[78:79], v[12:13]
	;; [unrolled: 3-line block ×4, first 2 shown]
	v_fma_f64 v[8:9], v[72:73], v[8:9], v[48:49]
	v_fma_f64 v[10:11], v[72:73], v[10:11], -v[50:51]
	v_fma_f64 v[12:13], v[76:77], v[12:13], v[52:53]
	v_fma_f64 v[14:15], v[76:77], v[14:15], -v[54:55]
	s_waitcnt lgkmcnt(1)
	v_mul_f64 v[48:49], v[82:83], v[42:43]
	v_mul_f64 v[50:51], v[82:83], v[40:41]
	s_waitcnt lgkmcnt(0)
	v_mul_f64 v[52:53], v[94:95], v[46:47]
	v_mul_f64 v[54:55], v[94:95], v[44:45]
	v_fma_f64 v[24:25], v[84:85], v[24:25], v[56:57]
	v_fma_f64 v[26:27], v[84:85], v[26:27], -v[58:59]
	v_fma_f64 v[28:29], v[88:89], v[28:29], v[60:61]
	v_fma_f64 v[30:31], v[88:89], v[30:31], -v[62:63]
	v_add_f64 v[8:9], v[0:1], -v[8:9]
	v_add_f64 v[10:11], v[2:3], -v[10:11]
	v_fma_f64 v[40:41], v[80:81], v[40:41], v[48:49]
	v_fma_f64 v[42:43], v[80:81], v[42:43], -v[50:51]
	v_fma_f64 v[44:45], v[92:93], v[44:45], v[52:53]
	v_fma_f64 v[46:47], v[92:93], v[46:47], -v[54:55]
	v_add_f64 v[12:13], v[4:5], -v[12:13]
	v_add_f64 v[14:15], v[6:7], -v[14:15]
	;; [unrolled: 1-line block ×6, first 2 shown]
	v_fma_f64 v[0:1], v[0:1], 2.0, -v[8:9]
	v_fma_f64 v[2:3], v[2:3], 2.0, -v[10:11]
	v_add_f64 v[40:41], v[32:33], -v[40:41]
	v_add_f64 v[42:43], v[34:35], -v[42:43]
	;; [unrolled: 1-line block ×4, first 2 shown]
	v_fma_f64 v[4:5], v[4:5], 2.0, -v[12:13]
	v_fma_f64 v[6:7], v[6:7], 2.0, -v[14:15]
	;; [unrolled: 1-line block ×10, first 2 shown]
	ds_write_b128 v245, v[0:3]
	ds_write_b128 v245, v[8:11] offset:4896
	ds_write_b128 v245, v[4:7] offset:816
	;; [unrolled: 1-line block ×11, first 2 shown]
	s_waitcnt lgkmcnt(0)
	; wave barrier
	s_waitcnt lgkmcnt(0)
	s_and_b64 exec, exec, vcc
	s_cbranch_execz .LBB0_15
; %bb.14:
	global_load_dwordx4 v[0:3], v180, s[12:13]
	ds_read_b128 v[4:7], v245
	ds_read_b128 v[8:11], v246 offset:576
	v_mad_u64_u32 v[12:13], s[0:1], s6, v217, 0
	v_mad_u64_u32 v[14:15], s[0:1], s4, v255, 0
	s_mul_i32 s3, s5, 0x240
	s_mul_hi_u32 s6, s4, 0x240
	v_mad_u64_u32 v[18:19], s[0:1], s7, v217, v[13:14]
	s_mul_i32 s2, s4, 0x240
	s_add_i32 s3, s6, s3
	v_mov_b32_e32 v13, v18
	s_movk_i32 s6, 0x1000
	s_waitcnt vmcnt(0) lgkmcnt(1)
	v_mul_f64 v[16:17], v[6:7], v[2:3]
	v_mul_f64 v[2:3], v[4:5], v[2:3]
	v_fma_f64 v[4:5], v[4:5], v[0:1], v[16:17]
	v_fma_f64 v[0:1], v[0:1], v[6:7], -v[2:3]
	v_mad_u64_u32 v[19:20], s[0:1], s5, v255, v[15:16]
	s_mov_b32 s0, 0x1ac5701b
	s_mov_b32 s1, 0x3f5ac570
	v_lshlrev_b64 v[6:7], 4, v[12:13]
	v_mov_b32_e32 v15, v19
	v_mul_f64 v[2:3], v[4:5], s[0:1]
	v_mul_f64 v[4:5], v[0:1], s[0:1]
	v_mov_b32_e32 v16, s15
	v_lshlrev_b64 v[12:13], 4, v[14:15]
	v_add_co_u32_e32 v0, vcc, s14, v6
	v_addc_co_u32_e32 v1, vcc, v16, v7, vcc
	v_add_co_u32_e32 v6, vcc, v0, v12
	v_addc_co_u32_e32 v7, vcc, v1, v13, vcc
	global_store_dwordx4 v[6:7], v[2:5], off
	global_load_dwordx4 v[2:5], v180, s[12:13] offset:576
	v_add_co_u32_e32 v14, vcc, s2, v6
	s_waitcnt vmcnt(0) lgkmcnt(0)
	v_mul_f64 v[12:13], v[10:11], v[4:5]
	v_mul_f64 v[4:5], v[8:9], v[4:5]
	v_fma_f64 v[8:9], v[8:9], v[2:3], v[12:13]
	v_fma_f64 v[4:5], v[2:3], v[10:11], -v[4:5]
	v_mul_f64 v[2:3], v[8:9], s[0:1]
	v_mul_f64 v[4:5], v[4:5], s[0:1]
	v_mov_b32_e32 v8, s3
	v_addc_co_u32_e32 v15, vcc, v7, v8, vcc
	global_store_dwordx4 v[14:15], v[2:5], off
	global_load_dwordx4 v[2:5], v180, s[12:13] offset:1152
	ds_read_b128 v[6:9], v246 offset:1152
	ds_read_b128 v[10:13], v246 offset:1728
	s_waitcnt vmcnt(0) lgkmcnt(1)
	v_mul_f64 v[16:17], v[8:9], v[4:5]
	v_mul_f64 v[4:5], v[6:7], v[4:5]
	v_fma_f64 v[6:7], v[6:7], v[2:3], v[16:17]
	v_fma_f64 v[4:5], v[2:3], v[8:9], -v[4:5]
	v_mul_f64 v[2:3], v[6:7], s[0:1]
	v_mul_f64 v[4:5], v[4:5], s[0:1]
	v_mov_b32_e32 v7, s3
	v_add_co_u32_e32 v6, vcc, s2, v14
	v_addc_co_u32_e32 v7, vcc, v15, v7, vcc
	v_add_co_u32_e32 v14, vcc, s2, v6
	global_store_dwordx4 v[6:7], v[2:5], off
	global_load_dwordx4 v[2:5], v180, s[12:13] offset:1728
	s_waitcnt vmcnt(0) lgkmcnt(0)
	v_mul_f64 v[8:9], v[12:13], v[4:5]
	v_mul_f64 v[4:5], v[10:11], v[4:5]
	v_fma_f64 v[8:9], v[10:11], v[2:3], v[8:9]
	v_fma_f64 v[4:5], v[2:3], v[12:13], -v[4:5]
	v_mul_f64 v[2:3], v[8:9], s[0:1]
	v_mul_f64 v[4:5], v[4:5], s[0:1]
	v_mov_b32_e32 v8, s3
	v_addc_co_u32_e32 v15, vcc, v7, v8, vcc
	global_store_dwordx4 v[14:15], v[2:5], off
	global_load_dwordx4 v[2:5], v180, s[12:13] offset:2304
	ds_read_b128 v[6:9], v246 offset:2304
	ds_read_b128 v[10:13], v246 offset:2880
	s_waitcnt vmcnt(0) lgkmcnt(1)
	v_mul_f64 v[16:17], v[8:9], v[4:5]
	v_mul_f64 v[4:5], v[6:7], v[4:5]
	v_fma_f64 v[6:7], v[6:7], v[2:3], v[16:17]
	v_fma_f64 v[4:5], v[2:3], v[8:9], -v[4:5]
	v_mul_f64 v[2:3], v[6:7], s[0:1]
	v_mul_f64 v[4:5], v[4:5], s[0:1]
	v_mov_b32_e32 v7, s3
	v_add_co_u32_e32 v6, vcc, s2, v14
	v_addc_co_u32_e32 v7, vcc, v15, v7, vcc
	v_add_co_u32_e32 v14, vcc, s2, v6
	global_store_dwordx4 v[6:7], v[2:5], off
	global_load_dwordx4 v[2:5], v180, s[12:13] offset:2880
	s_waitcnt vmcnt(0) lgkmcnt(0)
	v_mul_f64 v[8:9], v[12:13], v[4:5]
	v_mul_f64 v[4:5], v[10:11], v[4:5]
	v_fma_f64 v[8:9], v[10:11], v[2:3], v[8:9]
	v_fma_f64 v[4:5], v[2:3], v[12:13], -v[4:5]
	v_mul_f64 v[2:3], v[8:9], s[0:1]
	v_mul_f64 v[4:5], v[4:5], s[0:1]
	v_mov_b32_e32 v8, s3
	v_addc_co_u32_e32 v15, vcc, v7, v8, vcc
	global_store_dwordx4 v[14:15], v[2:5], off
	global_load_dwordx4 v[2:5], v180, s[12:13] offset:3456
	ds_read_b128 v[6:9], v246 offset:3456
	ds_read_b128 v[10:13], v246 offset:4032
	s_waitcnt vmcnt(0) lgkmcnt(1)
	v_mul_f64 v[16:17], v[8:9], v[4:5]
	v_mul_f64 v[4:5], v[6:7], v[4:5]
	v_fma_f64 v[6:7], v[6:7], v[2:3], v[16:17]
	v_fma_f64 v[4:5], v[2:3], v[8:9], -v[4:5]
	v_mul_f64 v[2:3], v[6:7], s[0:1]
	v_mul_f64 v[4:5], v[4:5], s[0:1]
	v_mov_b32_e32 v7, s3
	v_add_co_u32_e32 v6, vcc, s2, v14
	v_addc_co_u32_e32 v7, vcc, v15, v7, vcc
	v_mov_b32_e32 v14, s13
	v_add_co_u32_e32 v20, vcc, s12, v180
	global_store_dwordx4 v[6:7], v[2:5], off
	global_load_dwordx4 v[2:5], v180, s[12:13] offset:4032
	v_addc_co_u32_e32 v21, vcc, 0, v14, vcc
	v_add_co_u32_e32 v14, vcc, s6, v20
	v_addc_co_u32_e32 v15, vcc, 0, v21, vcc
	v_add_co_u32_e32 v16, vcc, s2, v6
	s_movk_i32 s6, 0x2000
	s_waitcnt vmcnt(0) lgkmcnt(0)
	v_mul_f64 v[8:9], v[12:13], v[4:5]
	v_mul_f64 v[4:5], v[10:11], v[4:5]
	v_fma_f64 v[8:9], v[10:11], v[2:3], v[8:9]
	v_fma_f64 v[4:5], v[2:3], v[12:13], -v[4:5]
	v_mov_b32_e32 v10, s3
	v_addc_co_u32_e32 v17, vcc, v7, v10, vcc
	v_mul_f64 v[2:3], v[8:9], s[0:1]
	v_mul_f64 v[4:5], v[4:5], s[0:1]
	global_store_dwordx4 v[16:17], v[2:5], off
	global_load_dwordx4 v[2:5], v[14:15], off offset:512
	ds_read_b128 v[6:9], v246 offset:4608
	ds_read_b128 v[10:13], v246 offset:5184
	s_waitcnt vmcnt(0) lgkmcnt(1)
	v_mul_f64 v[18:19], v[8:9], v[4:5]
	v_mul_f64 v[4:5], v[6:7], v[4:5]
	v_fma_f64 v[6:7], v[6:7], v[2:3], v[18:19]
	v_fma_f64 v[4:5], v[2:3], v[8:9], -v[4:5]
	v_mul_f64 v[2:3], v[6:7], s[0:1]
	v_mul_f64 v[4:5], v[4:5], s[0:1]
	v_mov_b32_e32 v7, s3
	v_add_co_u32_e32 v6, vcc, s2, v16
	v_addc_co_u32_e32 v7, vcc, v17, v7, vcc
	v_add_co_u32_e32 v16, vcc, s2, v6
	global_store_dwordx4 v[6:7], v[2:5], off
	global_load_dwordx4 v[2:5], v[14:15], off offset:1088
	s_waitcnt vmcnt(0) lgkmcnt(0)
	v_mul_f64 v[8:9], v[12:13], v[4:5]
	v_mul_f64 v[4:5], v[10:11], v[4:5]
	v_fma_f64 v[8:9], v[10:11], v[2:3], v[8:9]
	v_fma_f64 v[4:5], v[2:3], v[12:13], -v[4:5]
	v_mul_f64 v[2:3], v[8:9], s[0:1]
	v_mul_f64 v[4:5], v[4:5], s[0:1]
	v_mov_b32_e32 v8, s3
	v_addc_co_u32_e32 v17, vcc, v7, v8, vcc
	global_store_dwordx4 v[16:17], v[2:5], off
	global_load_dwordx4 v[2:5], v[14:15], off offset:1664
	ds_read_b128 v[6:9], v246 offset:5760
	ds_read_b128 v[10:13], v246 offset:6336
	s_waitcnt vmcnt(0) lgkmcnt(1)
	v_mul_f64 v[18:19], v[8:9], v[4:5]
	v_mul_f64 v[4:5], v[6:7], v[4:5]
	v_fma_f64 v[6:7], v[6:7], v[2:3], v[18:19]
	v_fma_f64 v[4:5], v[2:3], v[8:9], -v[4:5]
	v_mul_f64 v[2:3], v[6:7], s[0:1]
	v_mul_f64 v[4:5], v[4:5], s[0:1]
	v_mov_b32_e32 v7, s3
	v_add_co_u32_e32 v6, vcc, s2, v16
	v_addc_co_u32_e32 v7, vcc, v17, v7, vcc
	v_add_co_u32_e32 v16, vcc, s2, v6
	global_store_dwordx4 v[6:7], v[2:5], off
	global_load_dwordx4 v[2:5], v[14:15], off offset:2240
	s_waitcnt vmcnt(0) lgkmcnt(0)
	v_mul_f64 v[8:9], v[12:13], v[4:5]
	v_mul_f64 v[4:5], v[10:11], v[4:5]
	v_fma_f64 v[8:9], v[10:11], v[2:3], v[8:9]
	v_fma_f64 v[4:5], v[2:3], v[12:13], -v[4:5]
	v_mul_f64 v[2:3], v[8:9], s[0:1]
	v_mul_f64 v[4:5], v[4:5], s[0:1]
	v_mov_b32_e32 v8, s3
	v_addc_co_u32_e32 v17, vcc, v7, v8, vcc
	global_store_dwordx4 v[16:17], v[2:5], off
	global_load_dwordx4 v[2:5], v[14:15], off offset:2816
	ds_read_b128 v[6:9], v246 offset:6912
	ds_read_b128 v[10:13], v246 offset:7488
	s_waitcnt vmcnt(0) lgkmcnt(1)
	v_mul_f64 v[18:19], v[8:9], v[4:5]
	v_mul_f64 v[4:5], v[6:7], v[4:5]
	v_fma_f64 v[6:7], v[6:7], v[2:3], v[18:19]
	v_fma_f64 v[4:5], v[2:3], v[8:9], -v[4:5]
	v_mul_f64 v[2:3], v[6:7], s[0:1]
	v_mul_f64 v[4:5], v[4:5], s[0:1]
	v_mov_b32_e32 v7, s3
	v_add_co_u32_e32 v6, vcc, s2, v16
	v_addc_co_u32_e32 v7, vcc, v17, v7, vcc
	v_add_co_u32_e32 v16, vcc, s2, v6
	global_store_dwordx4 v[6:7], v[2:5], off
	global_load_dwordx4 v[2:5], v[14:15], off offset:3392
	s_waitcnt vmcnt(0) lgkmcnt(0)
	v_mul_f64 v[8:9], v[12:13], v[4:5]
	v_mul_f64 v[4:5], v[10:11], v[4:5]
	v_fma_f64 v[8:9], v[10:11], v[2:3], v[8:9]
	v_fma_f64 v[4:5], v[2:3], v[12:13], -v[4:5]
	v_mul_f64 v[2:3], v[8:9], s[0:1]
	v_mul_f64 v[4:5], v[4:5], s[0:1]
	v_mov_b32_e32 v8, s3
	v_addc_co_u32_e32 v17, vcc, v7, v8, vcc
	global_store_dwordx4 v[16:17], v[2:5], off
	global_load_dwordx4 v[2:5], v[14:15], off offset:3968
	ds_read_b128 v[6:9], v246 offset:8064
	ds_read_b128 v[10:13], v246 offset:8640
	s_waitcnt vmcnt(0) lgkmcnt(1)
	v_mul_f64 v[14:15], v[8:9], v[4:5]
	v_mul_f64 v[4:5], v[6:7], v[4:5]
	v_fma_f64 v[6:7], v[6:7], v[2:3], v[14:15]
	v_fma_f64 v[4:5], v[2:3], v[8:9], -v[4:5]
	v_mov_b32_e32 v9, s3
	v_mul_f64 v[2:3], v[6:7], s[0:1]
	v_mul_f64 v[4:5], v[4:5], s[0:1]
	v_add_co_u32_e32 v6, vcc, s6, v20
	v_addc_co_u32_e32 v7, vcc, 0, v21, vcc
	v_add_co_u32_e32 v8, vcc, s2, v16
	v_addc_co_u32_e32 v9, vcc, v17, v9, vcc
	global_store_dwordx4 v[8:9], v[2:5], off
	global_load_dwordx4 v[2:5], v[6:7], off offset:448
	s_waitcnt vmcnt(0) lgkmcnt(0)
	v_mul_f64 v[6:7], v[12:13], v[4:5]
	v_mul_f64 v[4:5], v[10:11], v[4:5]
	v_fma_f64 v[6:7], v[10:11], v[2:3], v[6:7]
	v_fma_f64 v[4:5], v[2:3], v[12:13], -v[4:5]
	v_or_b32_e32 v12, 0x240, v255
	v_lshlrev_b32_e32 v10, 4, v12
	v_mul_f64 v[2:3], v[6:7], s[0:1]
	v_mul_f64 v[4:5], v[4:5], s[0:1]
	v_mov_b32_e32 v7, s3
	v_add_co_u32_e32 v6, vcc, s2, v8
	v_addc_co_u32_e32 v7, vcc, v9, v7, vcc
	global_store_dwordx4 v[6:7], v[2:5], off
	global_load_dwordx4 v[2:5], v10, s[12:13]
	ds_read_b128 v[6:9], v246 offset:9216
	s_waitcnt vmcnt(0) lgkmcnt(0)
	v_mul_f64 v[10:11], v[8:9], v[4:5]
	v_mul_f64 v[4:5], v[6:7], v[4:5]
	v_fma_f64 v[6:7], v[6:7], v[2:3], v[10:11]
	v_fma_f64 v[4:5], v[2:3], v[8:9], -v[4:5]
	v_mad_u64_u32 v[8:9], s[2:3], s4, v12, 0
	v_mov_b32_e32 v2, v9
	v_mad_u64_u32 v[9:10], s[2:3], s5, v12, v[2:3]
	v_mul_f64 v[2:3], v[6:7], s[0:1]
	v_mul_f64 v[4:5], v[4:5], s[0:1]
	v_lshlrev_b64 v[6:7], 4, v[8:9]
	v_add_co_u32_e32 v0, vcc, v0, v6
	v_addc_co_u32_e32 v1, vcc, v1, v7, vcc
	global_store_dwordx4 v[0:1], v[2:5], off
.LBB0_15:
	s_endpgm
	.section	.rodata,"a",@progbits
	.p2align	6, 0x0
	.amdhsa_kernel bluestein_single_fwd_len612_dim1_dp_op_CI_CI
		.amdhsa_group_segment_fixed_size 9792
		.amdhsa_private_segment_fixed_size 548
		.amdhsa_kernarg_size 104
		.amdhsa_user_sgpr_count 6
		.amdhsa_user_sgpr_private_segment_buffer 1
		.amdhsa_user_sgpr_dispatch_ptr 0
		.amdhsa_user_sgpr_queue_ptr 0
		.amdhsa_user_sgpr_kernarg_segment_ptr 1
		.amdhsa_user_sgpr_dispatch_id 0
		.amdhsa_user_sgpr_flat_scratch_init 0
		.amdhsa_user_sgpr_private_segment_size 0
		.amdhsa_uses_dynamic_stack 0
		.amdhsa_system_sgpr_private_segment_wavefront_offset 1
		.amdhsa_system_sgpr_workgroup_id_x 1
		.amdhsa_system_sgpr_workgroup_id_y 0
		.amdhsa_system_sgpr_workgroup_id_z 0
		.amdhsa_system_sgpr_workgroup_info 0
		.amdhsa_system_vgpr_workitem_id 0
		.amdhsa_next_free_vgpr 256
		.amdhsa_next_free_sgpr 64
		.amdhsa_reserve_vcc 1
		.amdhsa_reserve_flat_scratch 0
		.amdhsa_float_round_mode_32 0
		.amdhsa_float_round_mode_16_64 0
		.amdhsa_float_denorm_mode_32 3
		.amdhsa_float_denorm_mode_16_64 3
		.amdhsa_dx10_clamp 1
		.amdhsa_ieee_mode 1
		.amdhsa_fp16_overflow 0
		.amdhsa_exception_fp_ieee_invalid_op 0
		.amdhsa_exception_fp_denorm_src 0
		.amdhsa_exception_fp_ieee_div_zero 0
		.amdhsa_exception_fp_ieee_overflow 0
		.amdhsa_exception_fp_ieee_underflow 0
		.amdhsa_exception_fp_ieee_inexact 0
		.amdhsa_exception_int_div_zero 0
	.end_amdhsa_kernel
	.text
.Lfunc_end0:
	.size	bluestein_single_fwd_len612_dim1_dp_op_CI_CI, .Lfunc_end0-bluestein_single_fwd_len612_dim1_dp_op_CI_CI
                                        ; -- End function
	.section	.AMDGPU.csdata,"",@progbits
; Kernel info:
; codeLenInByte = 27976
; NumSgprs: 68
; NumVgprs: 256
; ScratchSize: 548
; MemoryBound: 0
; FloatMode: 240
; IeeeMode: 1
; LDSByteSize: 9792 bytes/workgroup (compile time only)
; SGPRBlocks: 8
; VGPRBlocks: 63
; NumSGPRsForWavesPerEU: 68
; NumVGPRsForWavesPerEU: 256
; Occupancy: 1
; WaveLimiterHint : 1
; COMPUTE_PGM_RSRC2:SCRATCH_EN: 1
; COMPUTE_PGM_RSRC2:USER_SGPR: 6
; COMPUTE_PGM_RSRC2:TRAP_HANDLER: 0
; COMPUTE_PGM_RSRC2:TGID_X_EN: 1
; COMPUTE_PGM_RSRC2:TGID_Y_EN: 0
; COMPUTE_PGM_RSRC2:TGID_Z_EN: 0
; COMPUTE_PGM_RSRC2:TIDIG_COMP_CNT: 0
	.type	__hip_cuid_29e675e6715bc65b,@object ; @__hip_cuid_29e675e6715bc65b
	.section	.bss,"aw",@nobits
	.globl	__hip_cuid_29e675e6715bc65b
__hip_cuid_29e675e6715bc65b:
	.byte	0                               ; 0x0
	.size	__hip_cuid_29e675e6715bc65b, 1

	.ident	"AMD clang version 19.0.0git (https://github.com/RadeonOpenCompute/llvm-project roc-6.4.0 25133 c7fe45cf4b819c5991fe208aaa96edf142730f1d)"
	.section	".note.GNU-stack","",@progbits
	.addrsig
	.addrsig_sym __hip_cuid_29e675e6715bc65b
	.amdgpu_metadata
---
amdhsa.kernels:
  - .args:
      - .actual_access:  read_only
        .address_space:  global
        .offset:         0
        .size:           8
        .value_kind:     global_buffer
      - .actual_access:  read_only
        .address_space:  global
        .offset:         8
        .size:           8
        .value_kind:     global_buffer
      - .actual_access:  read_only
        .address_space:  global
        .offset:         16
        .size:           8
        .value_kind:     global_buffer
      - .actual_access:  read_only
        .address_space:  global
        .offset:         24
        .size:           8
        .value_kind:     global_buffer
      - .actual_access:  read_only
        .address_space:  global
        .offset:         32
        .size:           8
        .value_kind:     global_buffer
      - .offset:         40
        .size:           8
        .value_kind:     by_value
      - .address_space:  global
        .offset:         48
        .size:           8
        .value_kind:     global_buffer
      - .address_space:  global
        .offset:         56
        .size:           8
        .value_kind:     global_buffer
      - .address_space:  global
        .offset:         64
        .size:           8
        .value_kind:     global_buffer
      - .address_space:  global
        .offset:         72
        .size:           8
        .value_kind:     global_buffer
      - .offset:         80
        .size:           4
        .value_kind:     by_value
      - .address_space:  global
        .offset:         88
        .size:           8
        .value_kind:     global_buffer
      - .address_space:  global
        .offset:         96
        .size:           8
        .value_kind:     global_buffer
    .group_segment_fixed_size: 9792
    .kernarg_segment_align: 8
    .kernarg_segment_size: 104
    .language:       OpenCL C
    .language_version:
      - 2
      - 0
    .max_flat_workgroup_size: 51
    .name:           bluestein_single_fwd_len612_dim1_dp_op_CI_CI
    .private_segment_fixed_size: 548
    .sgpr_count:     68
    .sgpr_spill_count: 0
    .symbol:         bluestein_single_fwd_len612_dim1_dp_op_CI_CI.kd
    .uniform_work_group_size: 1
    .uses_dynamic_stack: false
    .vgpr_count:     256
    .vgpr_spill_count: 182
    .wavefront_size: 64
amdhsa.target:   amdgcn-amd-amdhsa--gfx906
amdhsa.version:
  - 1
  - 2
...

	.end_amdgpu_metadata
